;; amdgpu-corpus repo=ROCm/MIOpen kind=compiled arch=gfx906 opt=O3
	.amdgcn_target "amdgcn-amd-amdhsa--gfx906"
	.amdhsa_code_object_version 6
	.text
	.protected	AdamContiguous          ; -- Begin function AdamContiguous
	.globl	AdamContiguous
	.p2align	8
	.type	AdamContiguous,@function
AdamContiguous:                         ; @AdamContiguous
; %bb.0:
	s_load_dword s0, s[4:5], 0x7c
	s_load_dwordx2 s[34:35], s[4:5], 0x68
	s_add_u32 s52, s4, 0x70
	s_addc_u32 s53, s5, 0
	v_mov_b32_e32 v1, 0
	s_waitcnt lgkmcnt(0)
	s_and_b32 s33, s0, 0xffff
	s_mul_i32 s6, s6, s33
	v_add_u32_e32 v0, s6, v0
	v_cmp_gt_u64_e32 vcc, s[34:35], v[0:1]
	s_and_saveexec_b64 s[0:1], vcc
	s_cbranch_execz .LBB0_11
; %bb.1:
	s_load_dwordx8 s[24:31], s[4:5], 0x48
	v_mov_b32_e32 v28, 0x3ff00000
	s_mov_b32 s2, 0x55555555
	s_mov_b32 s3, 0x3fe55555
	;; [unrolled: 1-line block ×3, first 2 shown]
	s_waitcnt lgkmcnt(0)
	v_cvt_f64_u32_e32 v[6:7], s29
	v_cmp_neq_f32_e64 vcc, s26, 1.0
	v_cvt_f64_f32_e32 v[2:3], s26
	s_mov_b32 s1, 0x3fba6564
	v_cndmask_b32_e32 v5, v28, v7, vcc
	v_cndmask_b32_e32 v4, 0, v6, vcc
	v_cmp_neq_f64_e32 vcc, 0, v[4:5]
	s_mov_b32 s6, 0x4222de17
	s_mov_b32 s7, 0x3fbdee67
	;; [unrolled: 1-line block ×7, first 2 shown]
	v_cndmask_b32_e32 v3, v28, v3, vcc
	v_cndmask_b32_e32 v2, 0, v2, vcc
	v_frexp_mant_f64_e64 v[8:9], |v[2:3]|
	s_mov_b32 s13, 0x3fc3b13b
	s_mov_b32 s14, 0x71bf3c30
	;; [unrolled: 1-line block ×7, first 2 shown]
	v_cmp_gt_f64_e32 vcc, s[2:3], v[8:9]
	s_mov_b32 s22, 0x9999999c
	s_mov_b32 s23, 0x3fd99999
	;; [unrolled: 1-line block ×6, first 2 shown]
	s_movk_i32 s29, 0x204
	v_cndmask_b32_e64 v10, 0, 1, vcc
	v_ldexp_f64 v[8:9], v[8:9], v10
	s_mov_b32 s38, 0
	s_mov_b32 s39, 0x7ff00000
	s_load_dword s61, s[4:5], 0x60
	s_mov_b32 s58, 11
	s_mov_b32 s59, 0x3fe00000
	s_bitcmp1_b32 s30, 0
	s_cselect_b64 s[30:31], -1, 0
	v_add_f64 v[10:11], v[8:9], 1.0
	v_add_f64 v[16:17], v[8:9], -1.0
	s_waitcnt lgkmcnt(0)
	s_bitcmp1_b32 s61, 8
	s_cselect_b64 s[56:57], -1, 0
	s_bitcmp1_b32 s61, 16
	s_cselect_b64 s[64:65], -1, 0
	s_brev_b32 s60, -2
	v_rcp_f64_e32 v[12:13], v[10:11]
	v_add_f64 v[18:19], v[10:11], -1.0
	v_add_f64 v[8:9], v[8:9], -v[18:19]
	v_fma_f64 v[14:15], -v[10:11], v[12:13], 1.0
	v_fma_f64 v[12:13], v[14:15], v[12:13], v[12:13]
	v_fma_f64 v[14:15], -v[10:11], v[12:13], 1.0
	v_fma_f64 v[12:13], v[14:15], v[12:13], v[12:13]
	v_mul_f64 v[14:15], v[16:17], v[12:13]
	v_mul_f64 v[20:21], v[10:11], v[14:15]
	v_fma_f64 v[10:11], v[14:15], v[10:11], -v[20:21]
	v_fma_f64 v[8:9], v[14:15], v[8:9], v[10:11]
	v_add_f64 v[10:11], v[20:21], v[8:9]
	v_add_f64 v[18:19], v[16:17], -v[10:11]
	v_add_f64 v[20:21], v[10:11], -v[20:21]
	;; [unrolled: 1-line block ×5, first 2 shown]
	v_add_f64 v[8:9], v[8:9], v[10:11]
	v_add_f64 v[8:9], v[18:19], v[8:9]
	v_mul_f64 v[8:9], v[12:13], v[8:9]
	v_add_f64 v[10:11], v[14:15], v[8:9]
	v_add_f64 v[12:13], v[10:11], -v[14:15]
	v_mul_f64 v[14:15], v[10:11], v[10:11]
	v_add_f64 v[12:13], v[8:9], -v[12:13]
	v_fma_f64 v[8:9], v[10:11], v[10:11], -v[14:15]
	v_add_f64 v[16:17], v[12:13], v[12:13]
	v_fma_f64 v[8:9], v[10:11], v[16:17], v[8:9]
	v_mov_b32_e32 v17, s1
	v_mov_b32_e32 v16, s0
	v_cmp_neq_f32_e64 s[0:1], s25, 1.0
	v_cndmask_b32_e64 v7, v28, v7, s[0:1]
	v_cndmask_b32_e64 v6, 0, v6, s[0:1]
	v_cmp_neq_f64_e64 s[0:1], 0, v[6:7]
	v_add_f64 v[18:19], v[14:15], v[8:9]
	v_fma_f64 v[20:21], v[18:19], s[6:7], v[16:17]
	v_add_f64 v[14:15], v[18:19], -v[14:15]
	v_mul_f64 v[24:25], v[10:11], v[18:19]
	v_fma_f64 v[20:21], v[18:19], v[20:21], s[8:9]
	v_add_f64 v[8:9], v[8:9], -v[14:15]
	v_fma_f64 v[20:21], v[18:19], v[20:21], s[10:11]
	v_fma_f64 v[20:21], v[18:19], v[20:21], s[12:13]
	;; [unrolled: 1-line block ×6, first 2 shown]
	v_mul_f64 v[22:23], v[18:19], v[20:21]
	v_fma_f64 v[14:15], v[18:19], v[20:21], -v[22:23]
	v_fma_f64 v[14:15], v[8:9], v[20:21], v[14:15]
	v_fma_f64 v[20:21], v[18:19], v[10:11], -v[24:25]
	v_fma_f64 v[18:19], v[18:19], v[12:13], v[20:21]
	v_add_f64 v[20:21], v[22:23], v[14:15]
	v_ldexp_f64 v[12:13], v[12:13], 1
	v_fma_f64 v[8:9], v[8:9], v[10:11], v[18:19]
	v_add_f64 v[22:23], v[20:21], -v[22:23]
	v_ldexp_f64 v[10:11], v[10:11], 1
	v_add_f64 v[14:15], v[14:15], -v[22:23]
	v_add_f64 v[22:23], v[20:21], s[2:3]
	v_add_f64 v[14:15], v[14:15], s[36:37]
	;; [unrolled: 1-line block ×3, first 2 shown]
	v_add_f64 v[20:21], v[20:21], -v[26:27]
	v_add_f64 v[14:15], v[14:15], v[20:21]
	v_add_f64 v[18:19], v[22:23], v[14:15]
	v_add_f64 v[20:21], v[22:23], -v[18:19]
	v_add_f64 v[22:23], v[24:25], v[8:9]
	v_add_f64 v[20:21], v[14:15], v[20:21]
	v_mul_f64 v[14:15], v[22:23], v[18:19]
	v_fma_f64 v[26:27], v[22:23], v[18:19], -v[14:15]
	v_fma_f64 v[20:21], v[22:23], v[20:21], v[26:27]
	v_add_f64 v[22:23], v[22:23], -v[24:25]
	v_add_f64 v[22:23], v[8:9], -v[22:23]
	v_cvt_f64_f32_e32 v[8:9], s25
	v_cndmask_b32_e64 v9, v28, v9, s[0:1]
	v_cndmask_b32_e64 v8, 0, v8, s[0:1]
	v_cmp_class_f64_e64 s[62:63], v[8:9], s29
	v_fma_f64 v[18:19], v[22:23], v[18:19], v[20:21]
	v_frexp_mant_f64_e64 v[20:21], |v[8:9]|
	v_cmp_gt_f64_e64 s[0:1], s[2:3], v[20:21]
	v_cndmask_b32_e64 v22, 0, 1, s[0:1]
	v_ldexp_f64 v[20:21], v[20:21], v22
	v_add_f64 v[22:23], v[20:21], 1.0
	v_rcp_f64_e32 v[24:25], v[22:23]
	v_fma_f64 v[26:27], -v[22:23], v[24:25], 1.0
	v_fma_f64 v[24:25], v[26:27], v[24:25], v[24:25]
	v_fma_f64 v[26:27], -v[22:23], v[24:25], 1.0
	v_fma_f64 v[24:25], v[26:27], v[24:25], v[24:25]
	v_add_f64 v[26:27], v[22:23], -1.0
	v_add_f64 v[26:27], v[20:21], -v[26:27]
	v_add_f64 v[20:21], v[20:21], -1.0
	v_mul_f64 v[29:30], v[20:21], v[24:25]
	v_mul_f64 v[31:32], v[22:23], v[29:30]
	v_fma_f64 v[22:23], v[29:30], v[22:23], -v[31:32]
	v_fma_f64 v[22:23], v[29:30], v[26:27], v[22:23]
	v_add_f64 v[26:27], v[31:32], v[22:23]
	v_add_f64 v[31:32], v[26:27], -v[31:32]
	v_add_f64 v[22:23], v[31:32], -v[22:23]
	;; [unrolled: 1-line block ×5, first 2 shown]
	v_add_f64 v[20:21], v[22:23], v[20:21]
	v_add_f64 v[20:21], v[31:32], v[20:21]
	v_mul_f64 v[22:23], v[24:25], v[20:21]
	v_add_f64 v[20:21], v[29:30], v[22:23]
	v_add_f64 v[24:25], v[20:21], -v[29:30]
	v_add_f64 v[22:23], v[22:23], -v[24:25]
	v_mul_f64 v[24:25], v[20:21], v[20:21]
	v_add_f64 v[29:30], v[22:23], v[22:23]
	v_fma_f64 v[26:27], v[20:21], v[20:21], -v[24:25]
	v_fma_f64 v[26:27], v[20:21], v[29:30], v[26:27]
	v_add_f64 v[29:30], v[24:25], v[26:27]
	v_fma_f64 v[16:17], v[29:30], s[6:7], v[16:17]
	v_add_f64 v[24:25], v[29:30], -v[24:25]
	v_fma_f64 v[16:17], v[29:30], v[16:17], s[8:9]
	v_add_f64 v[24:25], v[26:27], -v[24:25]
	v_fma_f64 v[16:17], v[29:30], v[16:17], s[10:11]
	v_fma_f64 v[16:17], v[29:30], v[16:17], s[12:13]
	s_mov_b32 s12, 0x3b39803f
	s_mov_b32 s13, 0x3c7abc9e
	v_fma_f64 v[16:17], v[29:30], v[16:17], s[14:15]
	s_mov_b32 s14, 0xfefa39ef
	s_mov_b32 s15, 0x3fe62e42
	;; [unrolled: 3-line block ×5, first 2 shown]
	v_mul_f64 v[26:27], v[29:30], v[16:17]
	v_fma_f64 v[31:32], v[29:30], v[16:17], -v[26:27]
	v_fma_f64 v[16:17], v[24:25], v[16:17], v[31:32]
	v_mul_f64 v[31:32], v[20:21], v[29:30]
	v_fma_f64 v[33:34], v[29:30], v[20:21], -v[31:32]
	v_fma_f64 v[29:30], v[29:30], v[22:23], v[33:34]
	v_add_f64 v[33:34], v[26:27], v[16:17]
	v_fma_f64 v[24:25], v[24:25], v[20:21], v[29:30]
	v_add_f64 v[26:27], v[33:34], -v[26:27]
	v_ldexp_f64 v[20:21], v[20:21], 1
	v_add_f64 v[16:17], v[16:17], -v[26:27]
	v_add_f64 v[26:27], v[33:34], s[2:3]
	v_add_f64 v[16:17], v[16:17], s[36:37]
	v_add_f64 v[35:36], v[26:27], s[20:21]
	s_mov_b32 s21, 0xbc7abc9e
	s_mov_b32 s20, s12
	;; [unrolled: 1-line block ×4, first 2 shown]
	v_add_f64 v[33:34], v[33:34], -v[35:36]
	v_add_f64 v[16:17], v[16:17], v[33:34]
	v_add_f64 v[29:30], v[26:27], v[16:17]
	v_add_f64 v[26:27], v[26:27], -v[29:30]
	v_add_f64 v[16:17], v[16:17], v[26:27]
	v_add_f64 v[26:27], v[31:32], v[24:25]
	v_mul_f64 v[33:34], v[26:27], v[29:30]
	v_fma_f64 v[35:36], v[26:27], v[29:30], -v[33:34]
	v_fma_f64 v[16:17], v[26:27], v[16:17], v[35:36]
	v_add_f64 v[26:27], v[26:27], -v[31:32]
	v_add_f64 v[24:25], v[24:25], -v[26:27]
	v_fma_f64 v[29:30], v[24:25], v[29:30], v[16:17]
	v_frexp_exp_i32_f64_e32 v16, v[2:3]
	v_subbrev_co_u32_e32 v16, vcc, 0, v16, vcc
	v_cvt_f64_i32_e32 v[16:17], v16
	v_mul_f64 v[24:25], v[16:17], s[14:15]
	v_fma_f64 v[26:27], v[16:17], s[14:15], -v[24:25]
	v_fma_f64 v[16:17], v[16:17], s[12:13], v[26:27]
	v_frexp_exp_i32_f64_e32 v26, v[8:9]
	v_subbrev_co_u32_e64 v26, vcc, 0, v26, s[0:1]
	v_cvt_f64_i32_e32 v[31:32], v26
	v_mul_f64 v[26:27], v[31:32], s[14:15]
	v_fma_f64 v[35:36], v[31:32], s[14:15], -v[26:27]
	s_mov_b32 s15, 0xbfe62e42
	v_fma_f64 v[31:32], v[31:32], s[12:13], v[35:36]
	v_add_f64 v[35:36], v[14:15], v[18:19]
	v_add_f64 v[14:15], v[35:36], -v[14:15]
	v_add_f64 v[14:15], v[18:19], -v[14:15]
	v_add_f64 v[18:19], v[33:34], v[29:30]
	v_add_f64 v[12:13], v[12:13], v[14:15]
	v_ldexp_f64 v[14:15], v[22:23], 1
	v_add_f64 v[22:23], v[20:21], v[18:19]
	v_add_f64 v[33:34], v[18:19], -v[33:34]
	v_add_f64 v[20:21], v[22:23], -v[20:21]
	;; [unrolled: 1-line block ×4, first 2 shown]
	v_add_f64 v[20:21], v[10:11], v[35:36]
	v_add_f64 v[14:15], v[14:15], v[29:30]
	v_add_f64 v[10:11], v[20:21], -v[10:11]
	v_add_f64 v[14:15], v[14:15], v[18:19]
	v_add_f64 v[18:19], v[26:27], v[31:32]
	v_add_f64 v[10:11], v[35:36], -v[10:11]
	v_add_f64 v[26:27], v[18:19], -v[26:27]
	v_add_f64 v[10:11], v[12:13], v[10:11]
	v_add_f64 v[12:13], v[22:23], v[14:15]
	v_add_f64 v[26:27], v[31:32], -v[26:27]
	v_add_f64 v[31:32], v[24:25], v[16:17]
	v_add_f64 v[22:23], v[12:13], -v[22:23]
	v_add_f64 v[24:25], v[31:32], -v[24:25]
	;; [unrolled: 1-line block ×3, first 2 shown]
	v_add_f64 v[22:23], v[18:19], v[12:13]
	v_add_f64 v[16:17], v[16:17], -v[24:25]
	v_add_f64 v[29:30], v[22:23], -v[18:19]
	;; [unrolled: 1-line block ×5, first 2 shown]
	v_add_f64 v[29:30], v[20:21], v[10:11]
	v_add_f64 v[12:13], v[12:13], v[18:19]
	;; [unrolled: 1-line block ×4, first 2 shown]
	v_add_f64 v[20:21], v[29:30], -v[20:21]
	v_add_f64 v[35:36], v[33:34], -v[31:32]
	v_add_f64 v[12:13], v[18:19], v[12:13]
	v_add_f64 v[10:11], v[10:11], -v[20:21]
	v_add_f64 v[29:30], v[29:30], -v[35:36]
	;; [unrolled: 1-line block ×3, first 2 shown]
	v_add_f64 v[20:21], v[22:23], v[12:13]
	v_add_f64 v[31:32], v[31:32], -v[35:36]
	v_add_f64 v[35:36], v[18:19], -v[26:27]
	;; [unrolled: 1-line block ×5, first 2 shown]
	v_add_f64 v[18:19], v[29:30], v[31:32]
	v_add_f64 v[12:13], v[12:13], -v[22:23]
	v_add_f64 v[22:23], v[16:17], v[10:11]
	v_add_f64 v[26:27], v[26:27], -v[35:36]
	;; [unrolled: 2-line block ×4, first 2 shown]
	v_add_f64 v[10:11], v[10:11], -v[24:25]
	v_trunc_f64_e32 v[24:25], v[4:5]
	v_add_f64 v[12:13], v[14:15], v[12:13]
	v_add_f64 v[14:15], v[33:34], v[18:19]
	v_add_f64 v[16:17], v[16:17], -v[22:23]
	v_cmp_eq_f64_e64 s[0:1], v[24:25], v[4:5]
	v_add_f64 v[22:23], v[14:15], -v[33:34]
	v_add_f64 v[10:11], v[10:11], v[16:17]
	v_add_f64 v[16:17], v[18:19], -v[22:23]
	v_add_f64 v[18:19], v[20:21], v[12:13]
	v_add_f64 v[10:11], v[10:11], v[16:17]
	v_add_f64 v[16:17], v[18:19], -v[20:21]
	v_mul_f64 v[22:23], v[6:7], v[18:19]
	v_add_f64 v[20:21], v[14:15], v[10:11]
	v_add_f64 v[12:13], v[12:13], -v[16:17]
	v_trunc_f64_e32 v[16:17], v[6:7]
	v_fma_f64 v[18:19], v[6:7], v[18:19], -v[22:23]
	v_cmp_class_f64_e64 s[6:7], v[22:23], s29
	v_add_f64 v[14:15], v[20:21], -v[14:15]
	v_cmp_eq_f64_e32 vcc, v[16:17], v[6:7]
	v_mul_f64 v[16:17], v[4:5], v[20:21]
	v_add_f64 v[14:15], v[10:11], -v[14:15]
	v_fma_f64 v[10:11], v[6:7], v[12:13], v[18:19]
	v_mul_f64 v[12:13], v[4:5], 0.5
	v_fma_f64 v[18:19], v[4:5], v[20:21], -v[16:17]
	v_mul_f64 v[20:21], v[6:7], 0.5
	v_cmp_class_f64_e64 s[10:11], v[16:17], s29
	v_trunc_f64_e32 v[24:25], v[12:13]
	v_fma_f64 v[6:7], v[4:5], v[14:15], v[18:19]
	v_add_f64 v[14:15], v[22:23], v[10:11]
	v_trunc_f64_e32 v[4:5], v[20:21]
	v_cmp_neq_f64_e64 s[8:9], v[24:25], v[12:13]
	v_add_f64 v[12:13], v[16:17], v[6:7]
	v_cndmask_b32_e64 v19, v15, v23, s[6:7]
	v_cndmask_b32_e64 v18, v14, v22, s[6:7]
	v_cmp_neq_f64_e64 s[2:3], v[4:5], v[20:21]
	v_mul_f64 v[4:5], v[18:19], s[16:17]
	v_add_f64 v[14:15], v[14:15], -v[22:23]
	v_mov_b32_e32 v22, s36
	v_mov_b32_e32 v23, s37
	v_cndmask_b32_e64 v21, v13, v17, s[10:11]
	v_cndmask_b32_e64 v20, v12, v16, s[10:11]
	v_add_f64 v[24:25], v[12:13], -v[16:17]
	v_mul_f64 v[12:13], v[20:21], s[16:17]
	v_rndne_f64_e32 v[4:5], v[4:5]
	s_mov_b32 s16, 0
	s_mov_b32 s17, 0x40900000
	v_cmp_nlt_f64_e64 s[10:11], s[16:17], v[20:21]
	v_cmp_ngt_f64_e64 s[6:7], s[18:19], v[20:21]
	v_cmp_neq_f64_e64 s[12:13], |v[20:21]|, s[38:39]
	v_cmp_nlt_f64_e64 s[16:17], s[16:17], v[18:19]
	v_rndne_f64_e32 v[12:13], v[12:13]
	v_fma_f64 v[16:17], v[4:5], s[14:15], v[18:19]
	v_add_f64 v[14:15], v[10:11], -v[14:15]
	v_mov_b32_e32 v10, 0x7ff00000
	v_add_f64 v[6:7], v[6:7], -v[24:25]
	v_fma_f64 v[20:21], v[12:13], s[14:15], v[20:21]
	v_fma_f64 v[16:17], v[4:5], s[20:21], v[16:17]
	v_cmp_ngt_f64_e64 s[14:15], s[18:19], v[18:19]
	v_cmp_neq_f64_e64 s[18:19], |v[18:19]|, s[38:39]
	s_load_dwordx16 s[36:51], s[4:5], 0x0
	s_load_dwordx2 s[54:55], s[4:5], 0x40
	s_mov_b32 s4, 0x55555511
	s_mov_b32 s5, 0x3fc55555
	v_cvt_i32_f64_e32 v11, v[12:13]
	v_fma_f64 v[18:19], v[12:13], s[20:21], v[20:21]
	v_fma_f64 v[20:21], v[16:17], s[22:23], v[22:23]
	s_mov_b32 s20, 0x623fde64
	s_mov_b32 s21, 0x3ec71dee
	v_cndmask_b32_e64 v7, 0, v7, s[12:13]
	v_cndmask_b32_e64 v6, 0, v6, s[12:13]
	s_mov_b32 s12, 0xf800000
	v_fma_f64 v[22:23], v[18:19], s[22:23], v[22:23]
	v_fma_f64 v[20:21], v[16:17], v[20:21], s[20:21]
	s_mov_b32 s22, 0x7c89e6b0
	s_mov_b32 s23, 0x3efa0199
	v_fma_f64 v[22:23], v[18:19], v[22:23], s[20:21]
	v_fma_f64 v[20:21], v[16:17], v[20:21], s[22:23]
	s_mov_b32 s20, 0x14761f6e
	;; [unrolled: 4-line block ×5, first 2 shown]
	s_mov_b32 s23, 0x3fa55555
	v_fma_f64 v[22:23], v[18:19], v[22:23], s[20:21]
	v_fma_f64 v[20:21], v[16:17], v[20:21], s[22:23]
	v_cmp_eq_f64_e64 s[20:21], 0, v[2:3]
	v_fma_f64 v[22:23], v[18:19], v[22:23], s[22:23]
	v_fma_f64 v[20:21], v[16:17], v[20:21], s[4:5]
	v_cmp_eq_f64_e64 s[22:23], 0, v[8:9]
	v_cndmask_b32_e64 v8, 0, v14, s[18:19]
	v_fma_f64 v[22:23], v[18:19], v[22:23], s[4:5]
	v_fma_f64 v[20:21], v[16:17], v[20:21], s[58:59]
	v_cmp_class_f64_e64 s[4:5], v[2:3], s29
	v_cvt_i32_f64_e32 v2, v[4:5]
	v_fma_f64 v[22:23], v[18:19], v[22:23], s[58:59]
	v_fma_f64 v[20:21], v[16:17], v[20:21], 1.0
	s_xor_b64 s[58:59], s[64:65], -1
	s_or_b64 s[4:5], s[20:21], s[4:5]
	s_and_b64 s[20:21], s[20:21], exec
	s_cselect_b32 s61, 0, 0x7ff00000
	s_or_b64 s[20:21], s[22:23], s[62:63]
	s_and_b64 s[0:1], s[0:1], s[8:9]
	v_fma_f64 v[22:23], v[18:19], v[22:23], 1.0
	v_fma_f64 v[16:17], v[16:17], v[20:21], 1.0
	s_and_b64 s[8:9], s[6:7], s[10:11]
	s_and_b64 s[22:23], s[22:23], exec
	s_cselect_b32 s22, 0, 0x7ff00000
	s_and_b64 vcc, vcc, s[2:3]
	s_and_b64 s[2:3], s[14:15], s[16:17]
	v_cndmask_b32_e32 v13, v28, v9, vcc
	v_fma_f64 v[4:5], v[18:19], v[22:23], 1.0
	v_ldexp_f64 v[16:17], v[16:17], v2
	v_cndmask_b32_e32 v2, 0, v9, vcc
	v_cndmask_b32_e64 v9, 0, v15, s[18:19]
	v_mov_b32_e32 v18, s22
	v_bfi_b32 v2, s60, v18, v2
	v_ldexp_f64 v[4:5], v[4:5], v11
	v_cndmask_b32_e64 v12, v10, v17, s[16:17]
	v_cndmask_b32_e64 v11, 0, v16, s[2:3]
	;; [unrolled: 1-line block ×3, first 2 shown]
	v_cmp_class_f64_e64 vcc, v[11:12], s29
	v_fma_f64 v[8:9], v[11:12], v[8:9], v[11:12]
	v_cndmask_b32_e64 v5, v10, v5, s[10:11]
	v_cndmask_b32_e64 v4, 0, v4, s[8:9]
	v_cndmask_b32_e64 v5, 0, v5, s[6:7]
	v_cmp_class_f64_e64 s[2:3], v[4:5], s29
	v_fma_f64 v[6:7], v[4:5], v[6:7], v[4:5]
	v_cndmask_b32_e32 v9, v9, v12, vcc
	v_cndmask_b32_e32 v8, v8, v11, vcc
	v_bfi_b32 v9, s60, v9, v13
	v_cndmask_b32_e64 v8, v8, 0, s[20:21]
	v_cndmask_b32_e64 v9, v9, v2, s[20:21]
	v_add_f64 v[8:9], -v[8:9], 1.0
	v_mov_b32_e32 v2, s61
	v_cndmask_b32_e64 v10, 0, v3, s[0:1]
	v_cndmask_b32_e64 v3, v28, v3, s[0:1]
	v_bfi_b32 v10, s60, v2, v10
	v_cndmask_b32_e64 v2, v6, v4, s[2:3]
	v_cndmask_b32_e64 v4, v7, v5, s[2:3]
	v_bfi_b32 v3, s60, v4, v3
	v_cvt_f32_f64_e32 v9, v[8:9]
	v_cndmask_b32_e64 v2, v2, 0, s[4:5]
	v_cndmask_b32_e64 v3, v3, v10, s[4:5]
	v_add_f64 v[5:6], -v[2:3], 1.0
	v_div_scale_f32 v7, s[0:1], v9, v9, s24
	v_div_scale_f32 v8, vcc, s24, v9, s24
	v_mov_b32_e32 v10, s27
	s_load_dword s6, s[52:53], 0x0
	v_mov_b32_e32 v4, 0x260
	v_cvt_f32_f64_e32 v6, v[5:6]
	s_mov_b32 s7, 0
	v_lshlrev_b64 v[2:3], 2, v[0:1]
	s_waitcnt lgkmcnt(0)
	s_mul_i32 s6, s6, s33
	v_cmp_gt_f32_e64 s[0:1], s12, v6
	v_mul_f32_e32 v12, 0x4f800000, v6
	v_cndmask_b32_e64 v12, v6, v12, s[0:1]
	s_mov_b64 s[8:9], 0
	v_cmp_neq_f32_e64 s[10:11], s27, 0
	v_rcp_f32_e32 v11, v7
	v_sub_f32_e64 v5, 1.0, s26
	v_fma_f32 v6, -v7, v11, 1.0
	v_fmac_f32_e32 v11, v6, v11
	v_mul_f32_e32 v6, v8, v11
	v_fma_f32 v13, -v7, v6, v8
	v_fmac_f32_e32 v6, v13, v11
	v_fma_f32 v7, -v7, v6, v8
	v_div_fmas_f32 v11, v7, v11, v6
	v_sqrt_f32_e32 v8, v12
	v_mul_f32_e32 v7, s24, v10
	v_cmp_class_f32_e32 vcc, v12, v4
	v_sub_f32_e64 v6, 1.0, s25
	v_add_u32_e32 v10, -1, v8
	v_add_u32_e32 v13, 1, v8
	v_fma_f32 v14, -v10, v8, v12
	v_fma_f32 v15, -v13, v8, v12
	v_cmp_ge_f32_e64 s[2:3], 0, v14
	v_cmp_lt_f32_e64 s[4:5], 0, v15
	v_cndmask_b32_e64 v8, v8, v10, s[2:3]
	v_cndmask_b32_e64 v8, v8, v13, s[4:5]
	v_mul_f32_e32 v10, 0x37800000, v8
	v_cndmask_b32_e64 v8, v8, v10, s[0:1]
	v_cndmask_b32_e32 v8, v8, v12, vcc
	v_div_fixup_f32 v9, v11, v9, s24
	s_lshl_b64 s[4:5], s[6:7], 2
	s_branch .LBB0_3
.LBB0_2:                                ;   in Loop: Header=BB0_3 Depth=1
	v_mul_f32_e32 v15, 0x4f800000, v14
	v_cmp_gt_f32_e32 vcc, s12, v14
	v_cndmask_b32_e32 v14, v14, v15, vcc
	v_sqrt_f32_e32 v15, v14
	v_mov_b32_e32 v20, s49
	v_add_u32_e32 v16, -1, v15
	v_fma_f32 v18, -v16, v15, v14
	v_add_u32_e32 v17, 1, v15
	v_cmp_ge_f32_e64 s[0:1], 0, v18
	v_cndmask_b32_e64 v16, v15, v16, s[0:1]
	v_fma_f32 v15, -v17, v15, v14
	v_cmp_lt_f32_e64 s[0:1], 0, v15
	v_cndmask_b32_e64 v15, v16, v17, s[0:1]
	v_mul_f32_e32 v16, 0x37800000, v15
	v_cndmask_b32_e32 v15, v15, v16, vcc
	v_cmp_class_f32_e32 vcc, v14, v4
	v_cndmask_b32_e32 v14, v15, v14, vcc
	v_div_scale_f32 v15, s[0:1], v8, v8, v14
	v_div_scale_f32 v16, vcc, v14, v8, v14
	v_rcp_f32_e32 v17, v15
	v_fma_f32 v18, -v15, v17, 1.0
	v_fmac_f32_e32 v17, v18, v17
	v_mul_f32_e32 v18, v16, v17
	v_fma_f32 v19, -v15, v18, v16
	v_fmac_f32_e32 v18, v19, v17
	v_fma_f32 v15, -v15, v18, v16
	v_div_fmas_f32 v15, v15, v17, v18
	v_mul_f32_e32 v19, v6, v13
	v_fmac_f32_e32 v19, s25, v12
	v_mul_f32_e32 v12, v9, v19
	v_add_co_u32_e32 v13, vcc, s48, v2
	v_mov_b32_e32 v16, s39
	s_add_u32 s48, s48, s4
	s_addc_u32 s49, s49, s5
	v_mov_b32_e32 v18, s45
	v_div_fixup_f32 v14, v15, v8, v14
	v_add_f32_e32 v21, s28, v14
	v_div_scale_f32 v22, s[0:1], v21, v21, v12
	v_add_co_u32_e64 v0, s[0:1], s6, v0
	v_addc_co_u32_e64 v1, s[0:1], 0, v1, s[0:1]
	v_div_scale_f32 v23, s[0:1], v12, v21, v12
	v_addc_co_u32_e32 v14, vcc, v20, v3, vcc
	v_add_co_u32_e64 v15, s[2:3], s38, v2
	s_mov_b64 vcc, s[0:1]
	v_addc_co_u32_e64 v16, s[2:3], v16, v3, s[2:3]
	v_add_co_u32_e64 v17, s[2:3], s44, v2
	v_rcp_f32_e32 v20, v22
	s_add_u32 s44, s44, s4
	s_addc_u32 s45, s45, s5
	s_add_u32 s38, s38, s4
	v_fma_f32 v24, -v22, v20, 1.0
	v_fmac_f32_e32 v20, v24, v20
	v_mul_f32_e32 v24, v23, v20
	v_fma_f32 v25, -v22, v24, v23
	v_fmac_f32_e32 v24, v25, v20
	v_fma_f32 v22, -v22, v24, v23
	v_div_fmas_f32 v20, v22, v20, v24
	s_addc_u32 s39, s39, s5
	s_add_u32 s54, s54, s4
	s_addc_u32 s55, s55, s5
	s_add_u32 s50, s50, s4
	;; [unrolled: 2-line block ×5, first 2 shown]
	v_addc_co_u32_e64 v18, s[2:3], v18, v3, s[2:3]
	s_addc_u32 s37, s37, s5
	v_cmp_le_u64_e64 s[2:3], s[34:35], v[0:1]
	s_add_u32 s40, s40, s4
	s_addc_u32 s41, s41, s5
	v_div_fixup_f32 v12, v20, v21, v12
	s_or_b64 s[8:9], s[2:3], s[8:9]
	v_sub_f32_e32 v10, v10, v12
	global_store_dword v[15:16], v10, off
	global_store_dword v[17:18], v19, off
	;; [unrolled: 1-line block ×3, first 2 shown]
	s_andn2_b64 exec, exec, s[8:9]
	s_cbranch_execz .LBB0_11
.LBB0_3:                                ; =>This Inner Loop Header: Depth=1
	v_mov_b32_e32 v11, s41
	v_add_co_u32_e32 v10, vcc, s40, v2
	v_addc_co_u32_e32 v11, vcc, v11, v3, vcc
	global_load_dword v15, v[10:11], off
	v_mov_b32_e32 v11, s37
	v_add_co_u32_e32 v10, vcc, s36, v2
	v_addc_co_u32_e32 v11, vcc, v11, v3, vcc
	global_load_dword v10, v[10:11], off
	;; [unrolled: 4-line block ×4, first 2 shown]
	s_andn2_b64 vcc, exec, s[10:11]
	s_waitcnt vmcnt(3)
	v_cndmask_b32_e64 v13, v15, -v15, s[56:57]
	s_cbranch_vccnz .LBB0_9
; %bb.4:                                ;   in Loop: Header=BB0_3 Depth=1
	s_mov_b64 s[0:1], -1
	s_and_b64 vcc, exec, s[58:59]
                                        ; implicit-def: $vgpr11
	s_cbranch_vccz .LBB0_6
; %bb.5:                                ;   in Loop: Header=BB0_3 Depth=1
	s_waitcnt vmcnt(2)
	v_fma_f32 v11, s27, v10, v13
	s_mov_b64 s[0:1], 0
.LBB0_6:                                ;   in Loop: Header=BB0_3 Depth=1
	s_andn2_b64 vcc, exec, s[0:1]
	s_cbranch_vccnz .LBB0_8
; %bb.7:                                ;   in Loop: Header=BB0_3 Depth=1
	s_waitcnt vmcnt(2)
	v_fma_f32 v10, -v7, v10, v10
	s_branch .LBB0_9
.LBB0_8:                                ;   in Loop: Header=BB0_3 Depth=1
	v_mov_b32_e32 v13, v11
.LBB0_9:                                ;   in Loop: Header=BB0_3 Depth=1
	v_mul_f32_e32 v11, v13, v13
	v_mul_f32_e32 v11, v5, v11
	s_waitcnt vmcnt(0)
	v_fmac_f32_e32 v11, s26, v14
	s_andn2_b64 vcc, exec, s[30:31]
	v_mov_b32_e32 v14, v11
	s_cbranch_vccnz .LBB0_2
; %bb.10:                               ;   in Loop: Header=BB0_3 Depth=1
	v_mov_b32_e32 v15, s51
	v_add_co_u32_e32 v14, vcc, s50, v2
	v_addc_co_u32_e32 v15, vcc, v15, v3, vcc
	global_load_dword v14, v[14:15], off
	v_max_f32_e32 v15, v11, v11
	v_mov_b32_e32 v16, s55
	s_waitcnt vmcnt(0)
	v_max_f32_e32 v14, v14, v14
	v_max_f32_e32 v14, v14, v15
	v_add_co_u32_e32 v15, vcc, s54, v2
	v_addc_co_u32_e32 v16, vcc, v16, v3, vcc
	global_store_dword v[15:16], v14, off
	s_branch .LBB0_2
.LBB0_11:
	s_endpgm
	.section	.rodata,"a",@progbits
	.p2align	6, 0x0
	.amdhsa_kernel AdamContiguous
		.amdhsa_group_segment_fixed_size 0
		.amdhsa_private_segment_fixed_size 0
		.amdhsa_kernarg_size 368
		.amdhsa_user_sgpr_count 6
		.amdhsa_user_sgpr_private_segment_buffer 1
		.amdhsa_user_sgpr_dispatch_ptr 0
		.amdhsa_user_sgpr_queue_ptr 0
		.amdhsa_user_sgpr_kernarg_segment_ptr 1
		.amdhsa_user_sgpr_dispatch_id 0
		.amdhsa_user_sgpr_flat_scratch_init 0
		.amdhsa_user_sgpr_private_segment_size 0
		.amdhsa_uses_dynamic_stack 0
		.amdhsa_system_sgpr_private_segment_wavefront_offset 0
		.amdhsa_system_sgpr_workgroup_id_x 1
		.amdhsa_system_sgpr_workgroup_id_y 0
		.amdhsa_system_sgpr_workgroup_id_z 0
		.amdhsa_system_sgpr_workgroup_info 0
		.amdhsa_system_vgpr_workitem_id 0
		.amdhsa_next_free_vgpr 37
		.amdhsa_next_free_sgpr 66
		.amdhsa_reserve_vcc 1
		.amdhsa_reserve_flat_scratch 0
		.amdhsa_float_round_mode_32 0
		.amdhsa_float_round_mode_16_64 0
		.amdhsa_float_denorm_mode_32 3
		.amdhsa_float_denorm_mode_16_64 3
		.amdhsa_dx10_clamp 1
		.amdhsa_ieee_mode 1
		.amdhsa_fp16_overflow 0
		.amdhsa_exception_fp_ieee_invalid_op 0
		.amdhsa_exception_fp_denorm_src 0
		.amdhsa_exception_fp_ieee_div_zero 0
		.amdhsa_exception_fp_ieee_overflow 0
		.amdhsa_exception_fp_ieee_underflow 0
		.amdhsa_exception_fp_ieee_inexact 0
		.amdhsa_exception_int_div_zero 0
	.end_amdhsa_kernel
	.text
.Lfunc_end0:
	.size	AdamContiguous, .Lfunc_end0-AdamContiguous
                                        ; -- End function
	.set AdamContiguous.num_vgpr, 37
	.set AdamContiguous.num_agpr, 0
	.set AdamContiguous.numbered_sgpr, 66
	.set AdamContiguous.num_named_barrier, 0
	.set AdamContiguous.private_seg_size, 0
	.set AdamContiguous.uses_vcc, 1
	.set AdamContiguous.uses_flat_scratch, 0
	.set AdamContiguous.has_dyn_sized_stack, 0
	.set AdamContiguous.has_recursion, 0
	.set AdamContiguous.has_indirect_call, 0
	.section	.AMDGPU.csdata,"",@progbits
; Kernel info:
; codeLenInByte = 4260
; TotalNumSgprs: 70
; NumVgprs: 37
; ScratchSize: 0
; MemoryBound: 0
; FloatMode: 240
; IeeeMode: 1
; LDSByteSize: 0 bytes/workgroup (compile time only)
; SGPRBlocks: 8
; VGPRBlocks: 9
; NumSGPRsForWavesPerEU: 70
; NumVGPRsForWavesPerEU: 37
; Occupancy: 6
; WaveLimiterHint : 0
; COMPUTE_PGM_RSRC2:SCRATCH_EN: 0
; COMPUTE_PGM_RSRC2:USER_SGPR: 6
; COMPUTE_PGM_RSRC2:TRAP_HANDLER: 0
; COMPUTE_PGM_RSRC2:TGID_X_EN: 1
; COMPUTE_PGM_RSRC2:TGID_Y_EN: 0
; COMPUTE_PGM_RSRC2:TGID_Z_EN: 0
; COMPUTE_PGM_RSRC2:TIDIG_COMP_CNT: 0
	.text
	.protected	AmpAdamContiguousWithStep ; -- Begin function AmpAdamContiguousWithStep
	.globl	AmpAdamContiguousWithStep
	.p2align	8
	.type	AmpAdamContiguousWithStep,@function
AmpAdamContiguousWithStep:              ; @AmpAdamContiguousWithStep
; %bb.0:
	s_load_dword s0, s[4:5], 0x94
	s_load_dwordx2 s[28:29], s[4:5], 0x80
	s_add_u32 s14, s4, 0x88
	s_addc_u32 s15, s5, 0
	v_mov_b32_e32 v2, 0
	s_waitcnt lgkmcnt(0)
	s_and_b32 s0, s0, 0xffff
	s_mul_i32 s0, s6, s0
	v_add_u32_e32 v1, s0, v0
	v_cmp_gt_u64_e32 vcc, s[28:29], v[1:2]
	s_and_saveexec_b64 s[0:1], vcc
	s_cbranch_execz .LBB1_34
; %bb.1:
	s_load_dwordx2 s[30:31], s[4:5], 0x78
	s_load_dwordx8 s[20:27], s[4:5], 0x40
	s_load_dwordx16 s[36:51], s[4:5], 0x0
	s_load_dword s33, s[14:15], 0x0
	s_waitcnt lgkmcnt(0)
	s_bitcmp1_b32 s31, 0
	s_cselect_b64 s[34:35], -1, 0
	s_cmp_eq_u64 s[26:27], 0
	s_cselect_b64 s[0:1], -1, 0
	s_and_b64 vcc, exec, s[0:1]
	s_cbranch_vccnz .LBB1_17
; %bb.2:
	v_mov_b32_e32 v2, 0
	global_load_ubyte v1, v2, s[26:27]
	s_waitcnt vmcnt(0)
	v_cmp_ne_u32_e32 vcc, 0, v1
	s_cbranch_vccz .LBB1_33
; %bb.3:
	s_cmp_lt_u32 s6, s33
	s_cselect_b32 s0, 12, 18
	s_add_u32 s0, s14, s0
	s_addc_u32 s1, s15, 0
	global_load_ushort v3, v2, s[0:1]
	s_waitcnt vmcnt(0)
	v_mul_lo_u32 v1, s6, v3
	v_readfirstlane_b32 s0, v3
	v_add_u32_e32 v1, v1, v0
	v_cmp_gt_u64_e32 vcc, s[28:29], v[1:2]
	s_and_saveexec_b64 s[16:17], vcc
	s_cbranch_execz .LBB1_16
; %bb.4:
	s_cmp_lg_u64 s[36:37], s[38:39]
	v_lshlrev_b64 v[5:6], 1, v[1:2]
	s_mul_i32 s18, s33, s0
	s_cselect_b64 s[0:1], -1, 0
	s_cmp_lg_u64 s[40:41], 0
	s_cselect_b64 s[2:3], -1, 0
	s_cmp_lg_u64 s[44:45], s[46:47]
	v_mov_b32_e32 v7, s41
	v_add_co_u32_e32 v5, vcc, s40, v5
	s_cselect_b64 s[8:9], -1, 0
	s_cmp_lg_u64 s[48:49], s[50:51]
	v_addc_co_u32_e32 v6, vcc, v7, v6, vcc
	v_cndmask_b32_e64 v7, 0, 1, s[0:1]
	s_cselect_b64 s[10:11], -1, 0
	s_cmp_lg_u64 s[20:21], s[22:23]
	v_cmp_ne_u32_e64 s[0:1], 1, v7
	v_cndmask_b32_e64 v7, 0, 1, s[2:3]
	s_cselect_b64 s[56:57], -1, 0
	v_cmp_ne_u32_e64 s[2:3], 1, v7
	v_cndmask_b32_e64 v7, 0, 1, s[8:9]
	s_mov_b32 s19, 0
	v_cmp_ne_u32_e64 s[12:13], 1, v7
	v_cndmask_b32_e64 v7, 0, 1, s[10:11]
	s_and_b64 s[10:11], s[56:57], s[34:35]
	v_lshlrev_b64 v[3:4], 2, v[1:2]
	s_lshl_b64 s[54:55], s[18:19], 1
	v_cmp_ne_u32_e64 s[8:9], 1, v7
	v_cndmask_b32_e64 v7, 0, 1, s[10:11]
	s_mov_b64 s[26:27], 0
	s_lshl_b64 s[52:53], s[18:19], 2
	v_cmp_ne_u32_e64 s[10:11], 1, v7
	v_mov_b32_e32 v7, s55
	s_mov_b64 s[56:57], s[22:23]
	s_mov_b64 s[58:59], s[20:21]
	s_mov_b64 s[60:61], s[50:51]
	s_mov_b64 s[62:63], s[48:49]
	s_mov_b64 s[64:65], s[46:47]
	s_mov_b64 s[66:67], s[44:45]
	s_mov_b64 s[68:69], s[38:39]
	s_mov_b64 s[70:71], s[36:37]
	s_branch .LBB1_6
.LBB1_5:                                ;   in Loop: Header=BB1_6 Depth=1
	s_add_u32 s70, s70, s52
	s_addc_u32 s71, s71, s53
	s_add_u32 s68, s68, s52
	s_addc_u32 s69, s69, s53
	;; [unrolled: 2-line block ×6, first 2 shown]
	v_add_co_u32_e32 v1, vcc, s18, v1
	s_add_u32 s58, s58, s52
	v_addc_co_u32_e32 v2, vcc, 0, v2, vcc
	s_addc_u32 s59, s59, s53
	s_add_u32 s56, s56, s52
	v_cmp_le_u64_e32 vcc, s[28:29], v[1:2]
	s_addc_u32 s57, s57, s53
	s_or_b64 s[26:27], vcc, s[26:27]
	v_add_co_u32_e32 v5, vcc, s54, v5
	v_addc_co_u32_e32 v6, vcc, v6, v7, vcc
	s_andn2_b64 exec, exec, s[26:27]
	s_cbranch_execz .LBB1_16
.LBB1_6:                                ; =>This Inner Loop Header: Depth=1
	s_and_b64 vcc, exec, s[0:1]
	s_cbranch_vccnz .LBB1_8
; %bb.7:                                ;   in Loop: Header=BB1_6 Depth=1
	v_mov_b32_e32 v9, s71
	v_add_co_u32_e32 v8, vcc, s70, v3
	v_addc_co_u32_e32 v9, vcc, v9, v4, vcc
	global_load_dword v10, v[8:9], off
	v_mov_b32_e32 v9, s69
	v_add_co_u32_e32 v8, vcc, s68, v3
	v_addc_co_u32_e32 v9, vcc, v9, v4, vcc
	s_waitcnt vmcnt(0)
	global_store_dword v[8:9], v10, off
.LBB1_8:                                ;   in Loop: Header=BB1_6 Depth=1
	s_and_b64 vcc, exec, s[2:3]
	s_cbranch_vccnz .LBB1_10
; %bb.9:                                ;   in Loop: Header=BB1_6 Depth=1
	v_mov_b32_e32 v9, s71
	v_add_co_u32_e32 v8, vcc, s70, v3
	v_addc_co_u32_e32 v9, vcc, v9, v4, vcc
	global_load_dword v8, v[8:9], off
	s_waitcnt vmcnt(0)
	v_cvt_f16_f32_e32 v8, v8
	global_store_short v[5:6], v8, off
.LBB1_10:                               ;   in Loop: Header=BB1_6 Depth=1
	s_and_b64 vcc, exec, s[12:13]
	s_cbranch_vccnz .LBB1_12
; %bb.11:                               ;   in Loop: Header=BB1_6 Depth=1
	v_mov_b32_e32 v9, s67
	v_add_co_u32_e32 v8, vcc, s66, v3
	v_addc_co_u32_e32 v9, vcc, v9, v4, vcc
	global_load_dword v10, v[8:9], off
	v_mov_b32_e32 v9, s65
	v_add_co_u32_e32 v8, vcc, s64, v3
	v_addc_co_u32_e32 v9, vcc, v9, v4, vcc
	s_waitcnt vmcnt(0)
	global_store_dword v[8:9], v10, off
.LBB1_12:                               ;   in Loop: Header=BB1_6 Depth=1
	s_and_b64 vcc, exec, s[8:9]
	s_cbranch_vccnz .LBB1_14
; %bb.13:                               ;   in Loop: Header=BB1_6 Depth=1
	v_mov_b32_e32 v9, s63
	v_add_co_u32_e32 v8, vcc, s62, v3
	v_addc_co_u32_e32 v9, vcc, v9, v4, vcc
	global_load_dword v10, v[8:9], off
	v_mov_b32_e32 v9, s61
	v_add_co_u32_e32 v8, vcc, s60, v3
	v_addc_co_u32_e32 v9, vcc, v9, v4, vcc
	s_waitcnt vmcnt(0)
	global_store_dword v[8:9], v10, off
.LBB1_14:                               ;   in Loop: Header=BB1_6 Depth=1
	s_and_b64 vcc, exec, s[10:11]
	s_cbranch_vccnz .LBB1_5
; %bb.15:                               ;   in Loop: Header=BB1_6 Depth=1
	v_mov_b32_e32 v9, s59
	v_add_co_u32_e32 v8, vcc, s58, v3
	v_addc_co_u32_e32 v9, vcc, v9, v4, vcc
	global_load_dword v10, v[8:9], off
	v_mov_b32_e32 v9, s57
	v_add_co_u32_e32 v8, vcc, s56, v3
	v_addc_co_u32_e32 v9, vcc, v9, v4, vcc
	s_waitcnt vmcnt(0)
	global_store_dword v[8:9], v10, off
	s_branch .LBB1_5
.LBB1_16:
	s_or_b64 exec, exec, s[16:17]
	s_mov_b64 s[0:1], 0
.LBB1_17:
	s_and_b64 vcc, exec, s[0:1]
	s_cbranch_vccz .LBB1_34
.LBB1_18:
	s_load_dwordx2 s[0:1], s[4:5], 0x60
	s_cmp_lt_u32 s6, s33
	s_cselect_b32 s2, 12, 18
	s_add_u32 s2, s14, s2
	v_mov_b32_e32 v1, 0
	s_addc_u32 s3, s15, 0
	global_load_ushort v3, v1, s[2:3]
	s_waitcnt lgkmcnt(0)
	global_load_dword v2, v1, s[0:1]
	s_cmp_eq_u64 s[24:25], 0
	s_cselect_b64 s[0:1], -1, 0
	v_mov_b32_e32 v34, 1.0
	s_and_b64 vcc, exec, s[0:1]
	s_waitcnt vmcnt(1)
	v_readfirstlane_b32 s2, v3
	s_cbranch_vccnz .LBB1_20
; %bb.19:
	global_load_dword v3, v1, s[24:25]
	s_waitcnt vmcnt(0)
	v_cvt_f32_i32_e32 v34, v3
.LBB1_20:
	s_and_b32 s8, 0xffff, s2
	s_mul_i32 s6, s6, s8
	v_add_u32_e32 v0, s6, v0
	v_cmp_gt_u64_e32 vcc, s[28:29], v[0:1]
	s_and_b64 exec, exec, vcc
	s_cbranch_execz .LBB1_34
; %bb.21:
	s_load_dwordx4 s[24:27], s[4:5], 0x68
	s_load_dword s12, s[4:5], 0x7c
	s_waitcnt vmcnt(0)
	v_add_u32_e32 v2, 1, v2
	v_cvt_f64_u32_e32 v[2:3], v2
	v_mov_b32_e32 v35, 0x3ff00000
	s_waitcnt lgkmcnt(0)
	v_cmp_neq_f32_e64 vcc, s26, 1.0
	v_cvt_f64_f32_e32 v[4:5], s26
	v_cndmask_b32_e32 v9, v35, v3, vcc
	v_cndmask_b32_e32 v8, 0, v2, vcc
	v_cmp_neq_f64_e32 vcc, 0, v[8:9]
	s_mov_b32 s4, 0x55555555
	s_mov_b32 s5, 0x3fe55555
	v_cvt_f64_f32_e32 v[10:11], s25
	s_mov_b32 s6, 0x968915a9
	s_mov_b32 s7, 0x3fba6564
	;; [unrolled: 1-line block ×4, first 2 shown]
	v_cndmask_b32_e32 v5, v35, v5, vcc
	v_cndmask_b32_e32 v4, 0, v4, vcc
	v_frexp_mant_f64_e64 v[6:7], |v[4:5]|
	v_cmp_neq_f32_e64 vcc, s25, 1.0
	v_cndmask_b32_e32 v3, v35, v3, vcc
	v_cndmask_b32_e32 v2, 0, v2, vcc
	v_cmp_neq_f64_e64 s[2:3], 0, v[2:3]
	s_mov_b32 s14, 0x47e6c9c2
	s_mov_b32 s15, 0x3fc110ef
	s_movk_i32 s62, 0x204
	v_cmp_gt_f64_e32 vcc, s[4:5], v[6:7]
	v_trunc_f64_e32 v[44:45], v[8:9]
	v_mul_f64 v[46:47], v[2:3], 0.5
	s_mov_b32 s56, 0x555502a1
	s_mov_b32 s57, 0x3fa55555
	s_mul_i32 s52, s33, s8
	s_bitcmp1_b32 s12, 8
	s_mov_b32 s16, 0
	v_cndmask_b32_e64 v12, 0, 1, vcc
	v_ldexp_f64 v[12:13], v[6:7], v12
	v_cndmask_b32_e64 v7, v35, v11, s[2:3]
	v_cndmask_b32_e64 v6, 0, v10, s[2:3]
	v_frexp_mant_f64_e64 v[10:11], |v[6:7]|
	s_mov_b32 s17, 0x7ff00000
	s_mov_b32 s60, 0
	;; [unrolled: 1-line block ×4, first 2 shown]
	v_add_f64 v[14:15], v[12:13], 1.0
	s_mov_b32 s19, 0xc090cc00
	v_cmp_class_f64_e64 s[64:65], v[6:7], s62
	v_cmp_gt_f64_e64 s[2:3], s[4:5], v[10:11]
	s_brev_b32 s33, -2
	s_mov_b32 s31, 0xf800000
	s_mov_b32 s53, 0
	s_mov_b64 s[54:55], 0
	v_cndmask_b32_e64 v16, 0, 1, s[2:3]
	v_ldexp_f64 v[10:11], v[10:11], v16
	v_rcp_f64_e32 v[16:17], v[14:15]
	v_add_f64 v[18:19], v[10:11], 1.0
	v_add_f64 v[28:29], v[10:11], -1.0
	v_rcp_f64_e32 v[20:21], v[18:19]
	v_fma_f64 v[22:23], -v[14:15], v[16:17], 1.0
	v_fma_f64 v[16:17], v[22:23], v[16:17], v[16:17]
	v_fma_f64 v[22:23], -v[18:19], v[20:21], 1.0
	v_fma_f64 v[24:25], -v[14:15], v[16:17], 1.0
	v_fma_f64 v[20:21], v[22:23], v[20:21], v[20:21]
	v_add_f64 v[22:23], v[12:13], -1.0
	v_fma_f64 v[16:17], v[24:25], v[16:17], v[16:17]
	v_fma_f64 v[24:25], -v[18:19], v[20:21], 1.0
	v_mul_f64 v[26:27], v[22:23], v[16:17]
	v_fma_f64 v[20:21], v[24:25], v[20:21], v[20:21]
	v_add_f64 v[24:25], v[14:15], -1.0
	v_mul_f64 v[30:31], v[14:15], v[26:27]
	v_mul_f64 v[32:33], v[28:29], v[20:21]
	v_add_f64 v[12:13], v[12:13], -v[24:25]
	v_fma_f64 v[14:15], v[26:27], v[14:15], -v[30:31]
	v_add_f64 v[24:25], v[18:19], -1.0
	v_mul_f64 v[36:37], v[18:19], v[32:33]
	v_fma_f64 v[12:13], v[26:27], v[12:13], v[14:15]
	v_add_f64 v[10:11], v[10:11], -v[24:25]
	v_fma_f64 v[14:15], v[32:33], v[18:19], -v[36:37]
	v_add_f64 v[18:19], v[30:31], v[12:13]
	v_fma_f64 v[10:11], v[32:33], v[10:11], v[14:15]
	v_add_f64 v[14:15], v[22:23], -v[18:19]
	v_add_f64 v[30:31], v[18:19], -v[30:31]
	v_add_f64 v[24:25], v[36:37], v[10:11]
	v_add_f64 v[22:23], v[22:23], -v[14:15]
	v_add_f64 v[12:13], v[30:31], -v[12:13]
	v_mov_b32_e32 v31, s7
	v_mov_b32_e32 v30, s6
	s_mov_b32 s6, 0x3abe935a
	s_mov_b32 s7, 0x3fbe25e4
	v_add_f64 v[38:39], v[28:29], -v[24:25]
	v_add_f64 v[18:19], v[22:23], -v[18:19]
	;; [unrolled: 1-line block ×4, first 2 shown]
	v_add_f64 v[12:13], v[12:13], v[18:19]
	v_add_f64 v[10:11], v[22:23], -v[10:11]
	v_add_f64 v[18:19], v[28:29], -v[24:25]
	v_add_f64 v[12:13], v[14:15], v[12:13]
	v_add_f64 v[10:11], v[10:11], v[18:19]
	v_mul_f64 v[12:13], v[16:17], v[12:13]
	v_add_f64 v[10:11], v[38:39], v[10:11]
	v_add_f64 v[16:17], v[26:27], v[12:13]
	v_mul_f64 v[18:19], v[20:21], v[10:11]
	v_add_f64 v[10:11], v[16:17], -v[26:27]
	v_mul_f64 v[20:21], v[16:17], v[16:17]
	v_add_f64 v[14:15], v[32:33], v[18:19]
	v_add_f64 v[10:11], v[12:13], -v[10:11]
	v_fma_f64 v[22:23], v[16:17], v[16:17], -v[20:21]
	v_add_f64 v[12:13], v[14:15], -v[32:33]
	v_mul_f64 v[26:27], v[14:15], v[14:15]
	v_add_f64 v[24:25], v[10:11], v[10:11]
	v_add_f64 v[12:13], v[18:19], -v[12:13]
	v_fma_f64 v[18:19], v[16:17], v[24:25], v[22:23]
	v_fma_f64 v[22:23], v[14:15], v[14:15], -v[26:27]
	v_add_f64 v[24:25], v[12:13], v[12:13]
	v_add_f64 v[28:29], v[20:21], v[18:19]
	v_fma_f64 v[22:23], v[14:15], v[24:25], v[22:23]
	v_fma_f64 v[24:25], v[28:29], s[10:11], v[30:31]
	v_add_f64 v[20:21], v[28:29], -v[20:21]
	v_add_f64 v[32:33], v[26:27], v[22:23]
	v_fma_f64 v[24:25], v[28:29], v[24:25], s[6:7]
	v_add_f64 v[18:19], v[18:19], -v[20:21]
	v_fma_f64 v[30:31], v[32:33], s[10:11], v[30:31]
	s_mov_b32 s10, 0xcfa74449
	v_fma_f64 v[24:25], v[28:29], v[24:25], s[14:15]
	s_mov_b32 s11, 0x3fc3b13b
	v_add_f64 v[26:27], v[32:33], -v[26:27]
	v_fma_f64 v[30:31], v[32:33], v[30:31], s[6:7]
	s_mov_b32 s6, 0x71bf3c30
	v_fma_f64 v[24:25], v[28:29], v[24:25], s[10:11]
	s_mov_b32 s7, 0x3fc745d1
	;; [unrolled: 5-line block ×3, first 2 shown]
	v_fma_f64 v[30:31], v[32:33], v[30:31], s[10:11]
	s_mov_b32 s10, 0x924920da
	v_fma_f64 v[24:25], v[28:29], v[24:25], s[14:15]
	s_mov_b32 s11, 0x3fd24924
	;; [unrolled: 2-line block ×7, first 2 shown]
	v_mul_f64 v[36:37], v[28:29], v[24:25]
	s_mov_b32 s11, 0x3c8543b0
	v_fma_f64 v[20:21], v[32:33], v[30:31], s[6:7]
	s_mov_b32 s7, 0xbfe55555
	v_fma_f64 v[30:31], v[28:29], v[24:25], -v[36:37]
	s_mov_b32 s6, s4
	v_mul_f64 v[38:39], v[32:33], v[20:21]
	v_fma_f64 v[24:25], v[18:19], v[24:25], v[30:31]
	v_mul_f64 v[30:31], v[16:17], v[28:29]
	v_fma_f64 v[26:27], v[32:33], v[20:21], -v[38:39]
	v_add_f64 v[40:41], v[36:37], v[24:25]
	v_fma_f64 v[42:43], v[28:29], v[16:17], -v[30:31]
	v_fma_f64 v[20:21], v[22:23], v[20:21], v[26:27]
	v_add_f64 v[26:27], v[40:41], -v[36:37]
	v_add_f64 v[36:37], v[40:41], s[4:5]
	v_fma_f64 v[28:29], v[28:29], v[10:11], v[42:43]
	v_ldexp_f64 v[10:11], v[10:11], 1
	v_add_f64 v[42:43], v[38:39], v[20:21]
	v_add_f64 v[24:25], v[24:25], -v[26:27]
	v_add_f64 v[26:27], v[36:37], s[6:7]
	v_fma_f64 v[18:19], v[18:19], v[16:17], v[28:29]
	v_mul_f64 v[28:29], v[14:15], v[32:33]
	v_ldexp_f64 v[16:17], v[16:17], 1
	v_add_f64 v[38:39], v[42:43], -v[38:39]
	v_add_f64 v[24:25], v[24:25], s[10:11]
	v_add_f64 v[26:27], v[40:41], -v[26:27]
	v_add_f64 v[40:41], v[42:43], s[4:5]
	s_mov_b32 s4, 0xfefa39ef
	s_mov_b32 s5, 0x3fe62e42
	v_add_f64 v[20:21], v[20:21], -v[38:39]
	v_fma_f64 v[38:39], v[32:33], v[14:15], -v[28:29]
	v_add_f64 v[24:25], v[24:25], v[26:27]
	v_add_f64 v[26:27], v[40:41], s[6:7]
	s_mov_b32 s6, 0x3b39803f
	s_mov_b32 s7, 0x3c7abc9e
	v_add_f64 v[20:21], v[20:21], s[10:11]
	v_fma_f64 v[32:33], v[32:33], v[12:13], v[38:39]
	v_ldexp_f64 v[12:13], v[12:13], 1
	v_add_f64 v[38:39], v[36:37], v[24:25]
	v_add_f64 v[26:27], v[42:43], -v[26:27]
	v_add_f64 v[42:43], v[30:31], v[18:19]
	s_mov_b32 s10, 0x652b82fe
	s_mov_b32 s11, 0x3ff71547
	v_fma_f64 v[22:23], v[22:23], v[14:15], v[32:33]
	v_ldexp_f64 v[14:15], v[14:15], 1
	v_add_f64 v[20:21], v[20:21], v[26:27]
	v_add_f64 v[26:27], v[36:37], -v[38:39]
	v_mul_f64 v[36:37], v[42:43], v[38:39]
	v_add_f64 v[30:31], v[42:43], -v[30:31]
	v_add_f64 v[32:33], v[40:41], v[20:21]
	v_add_f64 v[24:25], v[24:25], v[26:27]
	v_fma_f64 v[26:27], v[42:43], v[38:39], -v[36:37]
	v_add_f64 v[18:19], v[18:19], -v[30:31]
	v_add_f64 v[40:41], v[40:41], -v[32:33]
	v_fma_f64 v[24:25], v[42:43], v[24:25], v[26:27]
	v_add_f64 v[26:27], v[28:29], v[22:23]
	v_add_f64 v[20:21], v[20:21], v[40:41]
	v_fma_f64 v[18:19], v[18:19], v[38:39], v[24:25]
	v_mul_f64 v[42:43], v[26:27], v[32:33]
	v_add_f64 v[28:29], v[26:27], -v[28:29]
	v_frexp_exp_i32_f64_e32 v24, v[4:5]
	v_fma_f64 v[40:41], v[26:27], v[32:33], -v[42:43]
	v_add_f64 v[22:23], v[22:23], -v[28:29]
	v_subbrev_co_u32_e32 v24, vcc, 0, v24, vcc
	v_cvt_f64_i32_e32 v[24:25], v24
	v_fma_f64 v[20:21], v[26:27], v[20:21], v[40:41]
	v_fma_f64 v[20:21], v[22:23], v[32:33], v[20:21]
	v_add_f64 v[22:23], v[36:37], v[18:19]
	v_frexp_exp_i32_f64_e32 v32, v[6:7]
	v_add_f64 v[26:27], v[42:43], v[20:21]
	v_add_f64 v[28:29], v[22:23], -v[36:37]
	v_add_f64 v[30:31], v[16:17], v[22:23]
	v_subbrev_co_u32_e64 v32, vcc, 0, v32, s[2:3]
	v_cvt_f64_i32_e32 v[32:33], v32
	v_mul_f64 v[36:37], v[24:25], s[4:5]
	v_add_f64 v[38:39], v[26:27], -v[42:43]
	v_add_f64 v[40:41], v[14:15], v[26:27]
	v_add_f64 v[18:19], v[18:19], -v[28:29]
	v_add_f64 v[16:17], v[30:31], -v[16:17]
	v_mul_f64 v[28:29], v[32:33], s[4:5]
	v_add_f64 v[20:21], v[20:21], -v[38:39]
	v_add_f64 v[14:15], v[40:41], -v[14:15]
	v_fma_f64 v[38:39], v[24:25], s[4:5], -v[36:37]
	v_add_f64 v[10:11], v[10:11], v[18:19]
	v_add_f64 v[16:17], v[22:23], -v[16:17]
	v_fma_f64 v[18:19], v[32:33], s[4:5], -v[28:29]
	s_mov_b32 s5, 0xbfe62e42
	v_add_f64 v[12:13], v[12:13], v[20:21]
	v_add_f64 v[14:15], v[26:27], -v[14:15]
	v_fma_f64 v[20:21], v[24:25], s[6:7], v[38:39]
	v_add_f64 v[10:11], v[10:11], v[16:17]
	v_fma_f64 v[16:17], v[32:33], s[6:7], v[18:19]
	s_mov_b32 s7, 0xbc7abc9e
	v_add_f64 v[12:13], v[12:13], v[14:15]
	v_add_f64 v[14:15], v[36:37], v[20:21]
	;; [unrolled: 1-line block ×5, first 2 shown]
	v_add_f64 v[36:37], v[14:15], -v[36:37]
	v_add_f64 v[26:27], v[14:15], v[18:19]
	v_add_f64 v[30:31], v[18:19], -v[30:31]
	v_add_f64 v[28:29], v[22:23], -v[28:29]
	v_add_f64 v[32:33], v[22:23], v[24:25]
	v_add_f64 v[20:21], v[20:21], -v[36:37]
	v_add_f64 v[40:41], v[24:25], -v[40:41]
	;; [unrolled: 1-line block ×9, first 2 shown]
	v_add_f64 v[28:29], v[20:21], v[10:11]
	v_trunc_f64_e32 v[40:41], v[2:3]
	v_add_f64 v[30:31], v[32:33], -v[42:43]
	v_add_f64 v[24:25], v[24:25], -v[42:43]
	;; [unrolled: 1-line block ×4, first 2 shown]
	v_add_f64 v[14:15], v[18:19], v[14:15]
	v_add_f64 v[18:19], v[16:17], v[12:13]
	v_add_f64 v[22:23], v[24:25], v[22:23]
	v_add_f64 v[24:25], v[28:29], -v[20:21]
	v_add_f64 v[14:15], v[28:29], v[14:15]
	v_add_f64 v[30:31], v[18:19], -v[16:17]
	v_add_f64 v[22:23], v[18:19], v[22:23]
	v_add_f64 v[28:29], v[28:29], -v[24:25]
	v_add_f64 v[10:11], v[10:11], -v[24:25]
	v_add_f64 v[36:37], v[26:27], v[14:15]
	v_add_f64 v[18:19], v[18:19], -v[30:31]
	v_add_f64 v[12:13], v[12:13], -v[30:31]
	v_add_f64 v[38:39], v[32:33], v[22:23]
	v_add_f64 v[20:21], v[20:21], -v[28:29]
	v_add_f64 v[24:25], v[36:37], -v[26:27]
	v_add_f64 v[16:17], v[16:17], -v[18:19]
	;; [unrolled: 1-line block ×3, first 2 shown]
	v_add_f64 v[10:11], v[10:11], v[20:21]
	v_add_f64 v[14:15], v[14:15], -v[24:25]
	v_add_f64 v[12:13], v[12:13], v[16:17]
	v_add_f64 v[16:17], v[22:23], -v[18:19]
	v_add_f64 v[10:11], v[10:11], v[14:15]
	v_add_f64 v[12:13], v[12:13], v[16:17]
	;; [unrolled: 1-line block ×4, first 2 shown]
	v_add_f64 v[20:21], v[14:15], -v[36:37]
	v_mul_f64 v[16:17], v[8:9], v[14:15]
	v_add_f64 v[22:23], v[18:19], -v[38:39]
	v_mul_f64 v[24:25], v[2:3], v[18:19]
	v_add_f64 v[10:11], v[10:11], -v[20:21]
	v_fma_f64 v[14:15], v[8:9], v[14:15], -v[16:17]
	v_cmp_class_f64_e64 vcc, v[16:17], s62
	v_add_f64 v[12:13], v[12:13], -v[22:23]
	v_fma_f64 v[18:19], v[2:3], v[18:19], -v[24:25]
	v_cmp_class_f64_e64 s[2:3], v[24:25], s62
	v_fma_f64 v[14:15], v[8:9], v[10:11], v[14:15]
	v_fma_f64 v[18:19], v[2:3], v[12:13], v[18:19]
	v_add_f64 v[20:21], v[16:17], v[14:15]
	v_add_f64 v[28:29], v[24:25], v[18:19]
	v_cndmask_b32_e32 v13, v21, v17, vcc
	v_cndmask_b32_e32 v12, v20, v16, vcc
	v_mul_f64 v[22:23], v[12:13], s[10:11]
	v_cmp_eq_f64_e32 vcc, v[40:41], v[2:3]
	v_mul_f64 v[40:41], v[8:9], 0.5
	v_cndmask_b32_e64 v11, v29, v25, s[2:3]
	v_cndmask_b32_e64 v10, v28, v24, s[2:3]
	v_mul_f64 v[30:31], v[10:11], s[10:11]
	s_mov_b32 s2, 0xfca7ab0c
	s_mov_b32 s3, 0x3e928af3
	v_rndne_f64_e32 v[26:27], v[22:23]
	s_mov_b32 s10, 0x55555511
	s_mov_b32 s11, 0x3fc55555
	v_add_f64 v[24:25], v[28:29], -v[24:25]
	v_add_f64 v[16:17], v[20:21], -v[16:17]
	v_rndne_f64_e32 v[22:23], v[30:31]
	v_fma_f64 v[30:31], v[26:27], s[4:5], v[12:13]
	v_add_f64 v[18:19], v[18:19], -v[24:25]
	v_add_f64 v[14:15], v[14:15], -v[16:17]
	v_fma_f64 v[36:37], v[22:23], s[4:5], v[10:11]
	s_mov_b32 s4, 0x6a5dcb37
	s_mov_b32 s5, 0x3e5ade15
	v_fma_f64 v[32:33], v[26:27], s[6:7], v[30:31]
	v_fma_f64 v[30:31], v[22:23], s[6:7], v[36:37]
	v_mov_b32_e32 v37, s3
	v_mov_b32_e32 v36, s2
	v_fma_f64 v[38:39], v[32:33], s[4:5], v[36:37]
	s_mov_b32 s2, 0x623fde64
	s_mov_b32 s3, 0x3ec71dee
	;; [unrolled: 1-line block ×4, first 2 shown]
	v_fma_f64 v[36:37], v[30:31], s[4:5], v[36:37]
	s_mov_b32 s4, 0x1852b7b0
	s_mov_b32 s5, 0x3f56c16c
	v_fma_f64 v[38:39], v[32:33], v[38:39], s[2:3]
	v_fma_f64 v[36:37], v[30:31], v[36:37], s[2:3]
	s_mov_b32 s2, 0x7c89e6b0
	s_mov_b32 s3, 0x3efa0199
	v_fma_f64 v[38:39], v[32:33], v[38:39], s[2:3]
	;; [unrolled: 4-line block ×3, first 2 shown]
	v_fma_f64 v[36:37], v[30:31], v[36:37], s[2:3]
	v_cmp_eq_f64_e64 s[2:3], v[44:45], v[8:9]
	v_fma_f64 v[38:39], v[32:33], v[38:39], s[4:5]
	v_fma_f64 v[42:43], v[30:31], v[36:37], s[4:5]
	v_mov_b32_e32 v37, 0x7ff00000
	v_mov_b32_e32 v36, 0x260
	v_fma_f64 v[38:39], v[32:33], v[38:39], s[14:15]
	v_fma_f64 v[2:3], v[30:31], v[42:43], s[14:15]
	v_cmp_class_f64_e64 s[14:15], v[4:5], s62
	v_trunc_f64_e32 v[42:43], v[46:47]
	v_fma_f64 v[8:9], v[32:33], v[38:39], s[56:57]
	v_trunc_f64_e32 v[38:39], v[40:41]
	v_fma_f64 v[44:45], v[30:31], v[2:3], s[56:57]
	s_cselect_b64 s[56:57], -1, 0
	s_bitcmp1_b32 s12, 16
	v_fma_f64 v[48:49], v[32:33], v[8:9], s[10:11]
	v_cmp_neq_f64_e64 s[8:9], v[38:39], v[40:41]
	v_cmp_eq_f64_e64 s[12:13], 0, v[6:7]
	v_cmp_neq_f64_e64 s[4:5], v[42:43], v[46:47]
	v_lshlrev_b64 v[8:9], 1, v[0:1]
	v_fma_f64 v[38:39], v[30:31], v[44:45], s[10:11]
	v_cmp_eq_f64_e64 s[10:11], 0, v[4:5]
	v_cvt_i32_f64_e32 v4, v[26:27]
	v_fma_f64 v[40:41], v[32:33], v[48:49], s[6:7]
	v_lshlrev_b64 v[2:3], 2, v[0:1]
	v_fma_f64 v[38:39], v[30:31], v[38:39], s[6:7]
	s_cselect_b64 s[6:7], -1, 0
	s_xor_b64 s[58:59], s[6:7], -1
	v_fma_f64 v[40:41], v[32:33], v[40:41], 1.0
	s_or_b64 s[6:7], s[10:11], s[14:15]
	v_cmp_neq_f64_e64 s[14:15], |v[10:11]|, s[16:17]
	s_and_b64 s[10:11], s[10:11], exec
	s_cselect_b32 s63, 0, 0x7ff00000
	v_fma_f64 v[28:29], v[30:31], v[38:39], 1.0
	s_and_b64 s[2:3], s[2:3], s[8:9]
	v_cmp_neq_f64_e64 s[8:9], |v[12:13]|, s[16:17]
	v_fma_f64 v[32:33], v[32:33], v[40:41], 1.0
	v_cmp_ngt_f64_e64 s[16:17], s[18:19], v[12:13]
	v_cndmask_b32_e64 v17, 0, v19, s[14:15]
	v_cndmask_b32_e64 v16, 0, v18, s[14:15]
	v_cmp_nlt_f64_e64 s[14:15], s[60:61], v[12:13]
	v_fma_f64 v[20:21], v[30:31], v[28:29], 1.0
	v_cmp_ngt_f64_e64 s[18:19], s[18:19], v[10:11]
	v_cndmask_b32_e64 v13, 0, v15, s[8:9]
	v_ldexp_f64 v[24:25], v[32:33], v4
	v_cvt_i32_f64_e32 v4, v[22:23]
	v_cndmask_b32_e64 v12, 0, v14, s[8:9]
	v_cmp_nlt_f64_e64 s[8:9], s[60:61], v[10:11]
	s_or_b64 s[10:11], s[12:13], s[64:65]
	v_ldexp_f64 v[19:20], v[20:21], v4
	v_cndmask_b32_e64 v4, v37, v25, s[14:15]
	s_and_b64 s[14:15], s[16:17], s[14:15]
	s_and_b64 s[12:13], s[12:13], exec
	v_cndmask_b32_e64 v14, 0, v24, s[14:15]
	s_cselect_b32 s14, 0, 0x7ff00000
	v_cndmask_b32_e64 v6, v37, v20, s[8:9]
	s_and_b64 s[8:9], s[18:19], s[8:9]
	v_cndmask_b32_e64 v11, 0, v6, s[18:19]
	v_cndmask_b32_e64 v10, 0, v19, s[8:9]
	v_fma_f64 v[16:17], v[10:11], v[16:17], v[10:11]
	v_cmp_class_f64_e64 s[8:9], v[10:11], s62
	s_and_b64 vcc, vcc, s[4:5]
	v_cndmask_b32_e64 v15, 0, v4, s[16:17]
	v_cndmask_b32_e32 v4, 0, v7, vcc
	v_mov_b32_e32 v6, s14
	v_cndmask_b32_e32 v7, v35, v7, vcc
	v_bfi_b32 v4, s33, v6, v4
	v_fma_f64 v[12:13], v[14:15], v[12:13], v[14:15]
	v_cndmask_b32_e64 v6, v16, v10, s[8:9]
	v_cndmask_b32_e64 v10, v17, v11, s[8:9]
	v_bfi_b32 v7, s33, v10, v7
	v_cndmask_b32_e64 v6, v6, 0, s[10:11]
	v_cndmask_b32_e64 v7, v7, v4, s[10:11]
	v_cmp_class_f64_e64 s[12:13], v[14:15], s62
	v_add_f64 v[6:7], -v[6:7], 1.0
	v_mov_b32_e32 v4, s63
	v_cndmask_b32_e64 v11, 0, v5, s[2:3]
	v_bfi_b32 v11, s33, v4, v11
	v_cndmask_b32_e64 v5, v35, v5, s[2:3]
	v_mov_b32_e32 v10, s41
	s_cmp_lg_u64 s[40:41], 0
	v_cndmask_b32_e64 v4, v12, v14, s[12:13]
	v_cndmask_b32_e64 v12, v13, v15, s[12:13]
	v_cvt_f32_f64_e32 v13, v[6:7]
	v_bfi_b32 v5, s33, v12, v5
	v_cndmask_b32_e64 v5, v5, v11, s[6:7]
	v_cndmask_b32_e64 v4, v4, 0, s[6:7]
	v_div_scale_f32 v12, s[2:3], v13, v13, s24
	v_div_scale_f32 v11, vcc, s24, v13, s24
	v_add_f64 v[6:7], -v[4:5], 1.0
	v_add_co_u32_e64 v4, s[2:3], s40, v8
	v_addc_co_u32_e64 v5, s[2:3], v10, v9, s[2:3]
	v_mov_b32_e32 v10, s27
	v_cmp_neq_f32_e64 s[4:5], s27, 0
	v_sub_f32_e64 v8, 1.0, s26
	v_cvt_f32_f64_e32 v6, v[6:7]
	v_sub_f32_e64 v9, 1.0, s25
	v_mul_f32_e32 v10, s24, v10
	s_cselect_b64 s[6:7], -1, 0
	v_rcp_f32_e32 v14, v12
	v_mul_f32_e32 v7, 0x4f800000, v6
	v_cmp_gt_f32_e64 s[2:3], s31, v6
	v_cndmask_b32_e64 v6, v6, v7, s[2:3]
	v_fma_f32 v15, -v12, v14, 1.0
	v_fmac_f32_e32 v14, v15, v14
	v_mul_f32_e32 v15, v11, v14
	v_fma_f32 v16, -v12, v15, v11
	v_fmac_f32_e32 v15, v16, v14
	v_fma_f32 v11, -v12, v15, v11
	v_div_fmas_f32 v12, v11, v14, v15
	v_sqrt_f32_e32 v7, v6
	s_lshl_b64 s[8:9], s[52:53], 2
	s_lshl_b64 s[10:11], s[52:53], 1
	v_add_u32_e32 v11, -1, v7
	v_add_u32_e32 v14, 1, v7
	v_fma_f32 v15, -v11, v7, v6
	v_fma_f32 v16, -v14, v7, v6
	v_cmp_ge_f32_e32 vcc, 0, v15
	v_cndmask_b32_e32 v7, v7, v11, vcc
	v_cmp_lt_f32_e32 vcc, 0, v16
	v_cndmask_b32_e32 v7, v7, v14, vcc
	v_mul_f32_e32 v11, 0x37800000, v7
	v_cndmask_b32_e64 v7, v7, v11, s[2:3]
	v_cmp_class_f32_e32 vcc, v6, v36
	v_cndmask_b32_e32 v11, v7, v6, vcc
	v_div_fixup_f32 v12, v12, v13, s24
	s_branch .LBB1_23
.LBB1_22:                               ;   in Loop: Header=BB1_23 Depth=1
	s_add_u32 s42, s42, s8
	s_addc_u32 s43, s43, s9
	s_add_u32 s36, s36, s8
	s_addc_u32 s37, s37, s9
	s_add_u32 s44, s44, s8
	s_addc_u32 s45, s45, s9
	s_add_u32 s48, s48, s8
	s_addc_u32 s49, s49, s9
	s_add_u32 s20, s20, s8
	s_addc_u32 s21, s21, s9
	s_add_u32 s22, s22, s8
	s_addc_u32 s23, s23, s9
	s_add_u32 s38, s38, s8
	s_addc_u32 s39, s39, s9
	v_add_co_u32_e32 v0, vcc, s52, v0
	s_add_u32 s46, s46, s8
	v_addc_co_u32_e32 v1, vcc, 0, v1, vcc
	s_addc_u32 s47, s47, s9
	s_add_u32 s50, s50, s8
	v_cmp_le_u64_e32 vcc, s[28:29], v[0:1]
	s_addc_u32 s51, s51, s9
	v_mov_b32_e32 v6, s11
	s_or_b64 s[54:55], vcc, s[54:55]
	v_add_co_u32_e32 v4, vcc, s10, v4
	v_addc_co_u32_e32 v5, vcc, v5, v6, vcc
	s_andn2_b64 exec, exec, s[54:55]
	s_cbranch_execz .LBB1_34
.LBB1_23:                               ; =>This Inner Loop Header: Depth=1
	v_mov_b32_e32 v7, s43
	v_add_co_u32_e32 v6, vcc, s42, v2
	v_addc_co_u32_e32 v7, vcc, v7, v3, vcc
	global_load_dword v14, v[6:7], off
	v_mov_b32_e32 v7, s37
	v_add_co_u32_e32 v6, vcc, s36, v2
	v_addc_co_u32_e32 v7, vcc, v7, v3, vcc
	v_mov_b32_e32 v13, s45
	v_add_co_u32_e32 v16, vcc, s44, v2
	v_addc_co_u32_e32 v17, vcc, v13, v3, vcc
	;; [unrolled: 3-line block ×3, first 2 shown]
	global_load_dword v13, v[6:7], off
	s_nop 0
	global_load_dword v6, v[16:17], off
	global_load_dword v15, v[18:19], off
	s_waitcnt vmcnt(3)
	v_div_scale_f32 v7, s[2:3], v34, v34, v14
	v_div_scale_f32 v16, vcc, v14, v34, v14
	v_rcp_f32_e32 v17, v7
	v_fma_f32 v18, -v7, v17, 1.0
	v_fmac_f32_e32 v17, v18, v17
	v_mul_f32_e32 v18, v16, v17
	v_fma_f32 v19, -v7, v18, v16
	v_fmac_f32_e32 v18, v19, v17
	v_fma_f32 v7, -v7, v18, v16
	v_div_fmas_f32 v7, v7, v17, v18
	s_andn2_b64 vcc, exec, s[4:5]
	v_div_fixup_f32 v7, v7, v34, v14
	v_cndmask_b32_e64 v7, v7, v14, s[0:1]
	v_cndmask_b32_e64 v7, v7, -v7, s[56:57]
	s_cbranch_vccnz .LBB1_29
; %bb.24:                               ;   in Loop: Header=BB1_23 Depth=1
	s_mov_b64 s[2:3], -1
	s_and_b64 vcc, exec, s[58:59]
                                        ; implicit-def: $vgpr14
	s_cbranch_vccz .LBB1_26
; %bb.25:                               ;   in Loop: Header=BB1_23 Depth=1
	s_waitcnt vmcnt(2)
	v_fma_f32 v14, s27, v13, v7
	s_mov_b64 s[2:3], 0
.LBB1_26:                               ;   in Loop: Header=BB1_23 Depth=1
	s_andn2_b64 vcc, exec, s[2:3]
	s_cbranch_vccnz .LBB1_28
; %bb.27:                               ;   in Loop: Header=BB1_23 Depth=1
	s_waitcnt vmcnt(2)
	v_fma_f32 v13, -v10, v13, v13
	s_branch .LBB1_29
.LBB1_28:                               ;   in Loop: Header=BB1_23 Depth=1
	v_mov_b32_e32 v7, v14
.LBB1_29:                               ;   in Loop: Header=BB1_23 Depth=1
	v_mul_f32_e32 v14, v7, v7
	v_mul_f32_e32 v14, v8, v14
	s_waitcnt vmcnt(0)
	v_fmac_f32_e32 v14, s26, v15
	s_andn2_b64 vcc, exec, s[34:35]
	v_mov_b32_e32 v15, v14
	s_cbranch_vccnz .LBB1_31
; %bb.30:                               ;   in Loop: Header=BB1_23 Depth=1
	v_mov_b32_e32 v16, s21
	v_add_co_u32_e32 v15, vcc, s20, v2
	v_addc_co_u32_e32 v16, vcc, v16, v3, vcc
	global_load_dword v15, v[15:16], off
	v_max_f32_e32 v16, v14, v14
	v_mov_b32_e32 v17, s23
	s_waitcnt vmcnt(0)
	v_max_f32_e32 v15, v15, v15
	v_max_f32_e32 v15, v15, v16
	v_add_co_u32_e32 v16, vcc, s22, v2
	v_addc_co_u32_e32 v17, vcc, v17, v3, vcc
	global_store_dword v[16:17], v15, off
.LBB1_31:                               ;   in Loop: Header=BB1_23 Depth=1
	v_mul_f32_e32 v16, 0x4f800000, v15
	v_cmp_gt_f32_e32 vcc, s31, v15
	v_cndmask_b32_e32 v15, v15, v16, vcc
	v_sqrt_f32_e32 v16, v15
	v_add_u32_e32 v17, -1, v16
	v_fma_f32 v19, -v17, v16, v15
	v_add_u32_e32 v18, 1, v16
	v_cmp_ge_f32_e64 s[2:3], 0, v19
	v_cndmask_b32_e64 v17, v16, v17, s[2:3]
	v_fma_f32 v16, -v18, v16, v15
	v_cmp_lt_f32_e64 s[2:3], 0, v16
	v_cndmask_b32_e64 v16, v17, v18, s[2:3]
	v_mul_f32_e32 v17, 0x37800000, v16
	v_cndmask_b32_e32 v16, v16, v17, vcc
	v_cmp_class_f32_e32 vcc, v15, v36
	v_cndmask_b32_e32 v15, v16, v15, vcc
	v_div_scale_f32 v16, s[2:3], v11, v11, v15
	v_div_scale_f32 v17, vcc, v15, v11, v15
	v_rcp_f32_e32 v18, v16
	v_fma_f32 v19, -v16, v18, 1.0
	v_fmac_f32_e32 v18, v19, v18
	v_mul_f32_e32 v19, v17, v18
	v_fma_f32 v20, -v16, v19, v17
	v_fmac_f32_e32 v19, v20, v18
	v_fma_f32 v16, -v16, v19, v17
	v_div_fmas_f32 v16, v16, v18, v19
	v_mul_f32_e32 v19, v9, v7
	v_fmac_f32_e32 v19, s25, v6
	v_mul_f32_e32 v20, v12, v19
	v_mov_b32_e32 v17, s47
	v_mov_b32_e32 v18, s51
	v_div_fixup_f32 v6, v16, v11, v15
	v_add_f32_e32 v21, s30, v6
	v_div_scale_f32 v6, s[2:3], v21, v21, v20
	v_div_scale_f32 v7, vcc, v20, v21, v20
	v_mov_b32_e32 v16, s39
	v_rcp_f32_e32 v15, v6
	v_fma_f32 v22, -v6, v15, 1.0
	v_fmac_f32_e32 v15, v22, v15
	v_mul_f32_e32 v22, v7, v15
	v_fma_f32 v23, -v6, v22, v7
	v_fmac_f32_e32 v22, v23, v15
	v_fma_f32 v6, -v6, v22, v7
	v_div_fmas_f32 v22, v6, v15, v22
	v_add_co_u32_e32 v6, vcc, s38, v2
	v_addc_co_u32_e32 v7, vcc, v16, v3, vcc
	v_add_co_u32_e32 v15, vcc, s46, v2
	v_addc_co_u32_e32 v16, vcc, v17, v3, vcc
	;; [unrolled: 2-line block ×3, first 2 shown]
	s_andn2_b64 vcc, exec, s[6:7]
	v_div_fixup_f32 v20, v22, v21, v20
	v_sub_f32_e32 v13, v13, v20
	global_store_dword v[6:7], v13, off
	global_store_dword v[15:16], v19, off
	;; [unrolled: 1-line block ×3, first 2 shown]
	s_cbranch_vccnz .LBB1_22
; %bb.32:                               ;   in Loop: Header=BB1_23 Depth=1
	global_load_dword v6, v[6:7], off
	s_waitcnt vmcnt(0)
	v_cvt_f16_f32_e32 v6, v6
	global_store_short v[4:5], v6, off
	s_branch .LBB1_22
.LBB1_33:
	s_cbranch_execnz .LBB1_18
.LBB1_34:
	s_endpgm
	.section	.rodata,"a",@progbits
	.p2align	6, 0x0
	.amdhsa_kernel AmpAdamContiguousWithStep
		.amdhsa_group_segment_fixed_size 0
		.amdhsa_private_segment_fixed_size 0
		.amdhsa_kernarg_size 392
		.amdhsa_user_sgpr_count 6
		.amdhsa_user_sgpr_private_segment_buffer 1
		.amdhsa_user_sgpr_dispatch_ptr 0
		.amdhsa_user_sgpr_queue_ptr 0
		.amdhsa_user_sgpr_kernarg_segment_ptr 1
		.amdhsa_user_sgpr_dispatch_id 0
		.amdhsa_user_sgpr_flat_scratch_init 0
		.amdhsa_user_sgpr_private_segment_size 0
		.amdhsa_uses_dynamic_stack 0
		.amdhsa_system_sgpr_private_segment_wavefront_offset 0
		.amdhsa_system_sgpr_workgroup_id_x 1
		.amdhsa_system_sgpr_workgroup_id_y 0
		.amdhsa_system_sgpr_workgroup_id_z 0
		.amdhsa_system_sgpr_workgroup_info 0
		.amdhsa_system_vgpr_workitem_id 0
		.amdhsa_next_free_vgpr 50
		.amdhsa_next_free_sgpr 72
		.amdhsa_reserve_vcc 1
		.amdhsa_reserve_flat_scratch 0
		.amdhsa_float_round_mode_32 0
		.amdhsa_float_round_mode_16_64 0
		.amdhsa_float_denorm_mode_32 3
		.amdhsa_float_denorm_mode_16_64 3
		.amdhsa_dx10_clamp 1
		.amdhsa_ieee_mode 1
		.amdhsa_fp16_overflow 0
		.amdhsa_exception_fp_ieee_invalid_op 0
		.amdhsa_exception_fp_denorm_src 0
		.amdhsa_exception_fp_ieee_div_zero 0
		.amdhsa_exception_fp_ieee_overflow 0
		.amdhsa_exception_fp_ieee_underflow 0
		.amdhsa_exception_fp_ieee_inexact 0
		.amdhsa_exception_int_div_zero 0
	.end_amdhsa_kernel
	.text
.Lfunc_end1:
	.size	AmpAdamContiguousWithStep, .Lfunc_end1-AmpAdamContiguousWithStep
                                        ; -- End function
	.set AmpAdamContiguousWithStep.num_vgpr, 50
	.set AmpAdamContiguousWithStep.num_agpr, 0
	.set AmpAdamContiguousWithStep.numbered_sgpr, 72
	.set AmpAdamContiguousWithStep.num_named_barrier, 0
	.set AmpAdamContiguousWithStep.private_seg_size, 0
	.set AmpAdamContiguousWithStep.uses_vcc, 1
	.set AmpAdamContiguousWithStep.uses_flat_scratch, 0
	.set AmpAdamContiguousWithStep.has_dyn_sized_stack, 0
	.set AmpAdamContiguousWithStep.has_recursion, 0
	.set AmpAdamContiguousWithStep.has_indirect_call, 0
	.section	.AMDGPU.csdata,"",@progbits
; Kernel info:
; codeLenInByte = 5180
; TotalNumSgprs: 76
; NumVgprs: 50
; ScratchSize: 0
; MemoryBound: 0
; FloatMode: 240
; IeeeMode: 1
; LDSByteSize: 0 bytes/workgroup (compile time only)
; SGPRBlocks: 9
; VGPRBlocks: 12
; NumSGPRsForWavesPerEU: 76
; NumVGPRsForWavesPerEU: 50
; Occupancy: 4
; WaveLimiterHint : 0
; COMPUTE_PGM_RSRC2:SCRATCH_EN: 0
; COMPUTE_PGM_RSRC2:USER_SGPR: 6
; COMPUTE_PGM_RSRC2:TRAP_HANDLER: 0
; COMPUTE_PGM_RSRC2:TGID_X_EN: 1
; COMPUTE_PGM_RSRC2:TGID_Y_EN: 0
; COMPUTE_PGM_RSRC2:TGID_Z_EN: 0
; COMPUTE_PGM_RSRC2:TIDIG_COMP_CNT: 0
	.text
	.protected	AmpAdamContiguous       ; -- Begin function AmpAdamContiguous
	.globl	AmpAdamContiguous
	.p2align	8
	.type	AmpAdamContiguous,@function
AmpAdamContiguous:                      ; @AmpAdamContiguous
; %bb.0:
	s_load_dword s0, s[4:5], 0x94
	s_load_dwordx2 s[22:23], s[4:5], 0x80
	s_add_u32 s14, s4, 0x88
	s_addc_u32 s15, s5, 0
	v_mov_b32_e32 v2, 0
	s_waitcnt lgkmcnt(0)
	s_and_b32 s0, s0, 0xffff
	s_mul_i32 s0, s6, s0
	v_add_u32_e32 v1, s0, v0
	v_cmp_gt_u64_e32 vcc, s[22:23], v[1:2]
	s_and_saveexec_b64 s[0:1], vcc
	s_cbranch_execz .LBB2_34
; %bb.1:
	s_load_dwordx4 s[52:55], s[4:5], 0x70
	s_load_dwordx8 s[24:31], s[4:5], 0x40
	s_load_dwordx16 s[36:51], s[4:5], 0x0
	s_load_dword s7, s[14:15], 0x0
	s_waitcnt lgkmcnt(0)
	s_bitcmp1_b32 s54, 0
	s_cselect_b64 s[34:35], -1, 0
	s_cmp_eq_u64 s[30:31], 0
	s_cselect_b64 s[0:1], -1, 0
	s_and_b64 vcc, exec, s[0:1]
	s_cbranch_vccnz .LBB2_17
; %bb.2:
	v_mov_b32_e32 v2, 0
	global_load_ubyte v1, v2, s[30:31]
	s_waitcnt vmcnt(0)
	v_cmp_ne_u32_e32 vcc, 0, v1
	s_cbranch_vccz .LBB2_33
; %bb.3:
	s_cmp_lt_u32 s6, s7
	s_cselect_b32 s0, 12, 18
	s_add_u32 s0, s14, s0
	s_addc_u32 s1, s15, 0
	global_load_ushort v3, v2, s[0:1]
	s_waitcnt vmcnt(0)
	v_mul_lo_u32 v1, s6, v3
	v_readfirstlane_b32 s0, v3
	v_add_u32_e32 v1, v1, v0
	v_cmp_gt_u64_e32 vcc, s[22:23], v[1:2]
	s_and_saveexec_b64 s[16:17], vcc
	s_cbranch_execz .LBB2_16
; %bb.4:
	s_cmp_lg_u64 s[36:37], s[38:39]
	v_lshlrev_b64 v[5:6], 1, v[1:2]
	s_mul_i32 s18, s7, s0
	s_cselect_b64 s[0:1], -1, 0
	s_cmp_lg_u64 s[40:41], 0
	s_cselect_b64 s[2:3], -1, 0
	s_cmp_lg_u64 s[44:45], s[46:47]
	v_mov_b32_e32 v7, s41
	v_add_co_u32_e32 v5, vcc, s40, v5
	s_cselect_b64 s[8:9], -1, 0
	s_cmp_lg_u64 s[48:49], s[50:51]
	v_addc_co_u32_e32 v6, vcc, v7, v6, vcc
	v_cndmask_b32_e64 v7, 0, 1, s[0:1]
	s_cselect_b64 s[10:11], -1, 0
	s_cmp_lg_u64 s[24:25], s[26:27]
	v_cmp_ne_u32_e64 s[0:1], 1, v7
	v_cndmask_b32_e64 v7, 0, 1, s[2:3]
	s_cselect_b64 s[56:57], -1, 0
	v_cmp_ne_u32_e64 s[2:3], 1, v7
	v_cndmask_b32_e64 v7, 0, 1, s[8:9]
	s_mov_b32 s19, 0
	v_cmp_ne_u32_e64 s[12:13], 1, v7
	v_cndmask_b32_e64 v7, 0, 1, s[10:11]
	s_and_b64 s[10:11], s[56:57], s[34:35]
	v_lshlrev_b64 v[3:4], 2, v[1:2]
	s_lshl_b64 s[54:55], s[18:19], 1
	v_cmp_ne_u32_e64 s[8:9], 1, v7
	v_cndmask_b32_e64 v7, 0, 1, s[10:11]
	s_mov_b64 s[20:21], 0
	s_lshl_b64 s[30:31], s[18:19], 2
	v_cmp_ne_u32_e64 s[10:11], 1, v7
	v_mov_b32_e32 v7, s55
	s_mov_b64 s[56:57], s[26:27]
	s_mov_b64 s[58:59], s[24:25]
	;; [unrolled: 1-line block ×8, first 2 shown]
	s_branch .LBB2_6
.LBB2_5:                                ;   in Loop: Header=BB2_6 Depth=1
	s_add_u32 s70, s70, s30
	s_addc_u32 s71, s71, s31
	s_add_u32 s68, s68, s30
	s_addc_u32 s69, s69, s31
	;; [unrolled: 2-line block ×6, first 2 shown]
	v_add_co_u32_e32 v1, vcc, s18, v1
	s_add_u32 s58, s58, s30
	v_addc_co_u32_e32 v2, vcc, 0, v2, vcc
	s_addc_u32 s59, s59, s31
	s_add_u32 s56, s56, s30
	v_cmp_le_u64_e32 vcc, s[22:23], v[1:2]
	s_addc_u32 s57, s57, s31
	s_or_b64 s[20:21], vcc, s[20:21]
	v_add_co_u32_e32 v5, vcc, s54, v5
	v_addc_co_u32_e32 v6, vcc, v6, v7, vcc
	s_andn2_b64 exec, exec, s[20:21]
	s_cbranch_execz .LBB2_16
.LBB2_6:                                ; =>This Inner Loop Header: Depth=1
	s_and_b64 vcc, exec, s[0:1]
	s_cbranch_vccnz .LBB2_8
; %bb.7:                                ;   in Loop: Header=BB2_6 Depth=1
	v_mov_b32_e32 v9, s71
	v_add_co_u32_e32 v8, vcc, s70, v3
	v_addc_co_u32_e32 v9, vcc, v9, v4, vcc
	global_load_dword v10, v[8:9], off
	v_mov_b32_e32 v9, s69
	v_add_co_u32_e32 v8, vcc, s68, v3
	v_addc_co_u32_e32 v9, vcc, v9, v4, vcc
	s_waitcnt vmcnt(0)
	global_store_dword v[8:9], v10, off
.LBB2_8:                                ;   in Loop: Header=BB2_6 Depth=1
	s_and_b64 vcc, exec, s[2:3]
	s_cbranch_vccnz .LBB2_10
; %bb.9:                                ;   in Loop: Header=BB2_6 Depth=1
	v_mov_b32_e32 v9, s71
	v_add_co_u32_e32 v8, vcc, s70, v3
	v_addc_co_u32_e32 v9, vcc, v9, v4, vcc
	global_load_dword v8, v[8:9], off
	s_waitcnt vmcnt(0)
	v_cvt_f16_f32_e32 v8, v8
	global_store_short v[5:6], v8, off
.LBB2_10:                               ;   in Loop: Header=BB2_6 Depth=1
	s_and_b64 vcc, exec, s[12:13]
	s_cbranch_vccnz .LBB2_12
; %bb.11:                               ;   in Loop: Header=BB2_6 Depth=1
	v_mov_b32_e32 v9, s67
	v_add_co_u32_e32 v8, vcc, s66, v3
	v_addc_co_u32_e32 v9, vcc, v9, v4, vcc
	global_load_dword v10, v[8:9], off
	v_mov_b32_e32 v9, s65
	v_add_co_u32_e32 v8, vcc, s64, v3
	v_addc_co_u32_e32 v9, vcc, v9, v4, vcc
	s_waitcnt vmcnt(0)
	global_store_dword v[8:9], v10, off
.LBB2_12:                               ;   in Loop: Header=BB2_6 Depth=1
	s_and_b64 vcc, exec, s[8:9]
	s_cbranch_vccnz .LBB2_14
; %bb.13:                               ;   in Loop: Header=BB2_6 Depth=1
	v_mov_b32_e32 v9, s63
	v_add_co_u32_e32 v8, vcc, s62, v3
	v_addc_co_u32_e32 v9, vcc, v9, v4, vcc
	global_load_dword v10, v[8:9], off
	v_mov_b32_e32 v9, s61
	v_add_co_u32_e32 v8, vcc, s60, v3
	v_addc_co_u32_e32 v9, vcc, v9, v4, vcc
	s_waitcnt vmcnt(0)
	global_store_dword v[8:9], v10, off
.LBB2_14:                               ;   in Loop: Header=BB2_6 Depth=1
	s_and_b64 vcc, exec, s[10:11]
	s_cbranch_vccnz .LBB2_5
; %bb.15:                               ;   in Loop: Header=BB2_6 Depth=1
	v_mov_b32_e32 v9, s59
	v_add_co_u32_e32 v8, vcc, s58, v3
	v_addc_co_u32_e32 v9, vcc, v9, v4, vcc
	global_load_dword v10, v[8:9], off
	v_mov_b32_e32 v9, s57
	v_add_co_u32_e32 v8, vcc, s56, v3
	v_addc_co_u32_e32 v9, vcc, v9, v4, vcc
	s_waitcnt vmcnt(0)
	global_store_dword v[8:9], v10, off
	s_branch .LBB2_5
.LBB2_16:
	s_or_b64 exec, exec, s[16:17]
	s_mov_b64 s[0:1], 0
.LBB2_17:
	s_and_b64 vcc, exec, s[0:1]
	s_cbranch_vccz .LBB2_34
.LBB2_18:
	s_cmp_lt_u32 s6, s7
	s_cselect_b32 s0, 12, 18
	s_add_u32 s0, s14, s0
	s_addc_u32 s1, s15, 0
	v_mov_b32_e32 v1, 0
	global_load_ushort v2, v1, s[0:1]
	s_cmp_eq_u64 s[28:29], 0
	s_cselect_b64 s[0:1], -1, 0
	v_mov_b32_e32 v34, 1.0
	s_and_b64 vcc, exec, s[0:1]
	s_waitcnt vmcnt(0)
	v_readfirstlane_b32 s2, v2
	s_cbranch_vccnz .LBB2_20
; %bb.19:
	global_load_dword v2, v1, s[28:29]
	s_waitcnt vmcnt(0)
	v_cvt_f32_i32_e32 v34, v2
.LBB2_20:
	s_and_b32 s10, 0xffff, s2
	s_mul_i32 s6, s6, s10
	v_add_u32_e32 v0, s6, v0
	v_cmp_gt_u64_e32 vcc, s[22:23], v[0:1]
	s_and_b64 exec, exec, vcc
	s_cbranch_execz .LBB2_34
; %bb.21:
	s_load_dwordx4 s[28:31], s[4:5], 0x60
	s_load_dword s11, s[4:5], 0x78
	v_mov_b32_e32 v35, 0x3ff00000
	s_mov_b32 s4, 0x55555555
	s_mov_b32 s5, 0x3fe55555
	s_waitcnt lgkmcnt(0)
	v_cvt_f64_u32_e32 v[4:5], s28
	v_cmp_neq_f32_e64 vcc, s31, 1.0
	v_cvt_f64_f32_e32 v[2:3], s31
	v_cvt_f64_f32_e32 v[10:11], s30
	v_cndmask_b32_e32 v9, v35, v5, vcc
	v_cndmask_b32_e32 v8, 0, v4, vcc
	v_cmp_neq_f64_e32 vcc, 0, v[8:9]
	s_mov_b32 s8, 0x968915a9
	s_mov_b32 s9, 0x3fba6564
	;; [unrolled: 1-line block ×6, first 2 shown]
	s_movk_i32 s33, 0x204
	v_cndmask_b32_e32 v3, v35, v3, vcc
	v_cndmask_b32_e32 v2, 0, v2, vcc
	v_frexp_mant_f64_e64 v[6:7], |v[2:3]|
	v_cmp_neq_f32_e64 vcc, s30, 1.0
	v_cndmask_b32_e32 v5, v35, v5, vcc
	v_cndmask_b32_e32 v4, 0, v4, vcc
	v_cmp_neq_f64_e64 s[2:3], 0, v[4:5]
	v_trunc_f64_e32 v[44:45], v[4:5]
	s_mov_b32 s60, 0x555502a1
	s_mov_b32 s61, 0x3fa55555
	v_cmp_gt_f64_e32 vcc, s[4:5], v[6:7]
	s_mul_i32 s54, s7, s10
	s_bitcmp1_b32 s11, 8
	s_mov_b32 s16, 0
	s_mov_b32 s17, 0x7ff00000
	;; [unrolled: 1-line block ×5, first 2 shown]
	v_cndmask_b32_e64 v12, 0, 1, vcc
	v_ldexp_f64 v[12:13], v[6:7], v12
	v_cndmask_b32_e64 v7, v35, v11, s[2:3]
	v_cndmask_b32_e64 v6, 0, v10, s[2:3]
	v_frexp_mant_f64_e64 v[10:11], |v[6:7]|
	v_cmp_class_f64_e64 s[64:65], v[6:7], s33
	s_mov_b32 s21, 0xc090cc00
	s_brev_b32 s66, -2
	s_mov_b32 s28, 0xf800000
	v_add_f64 v[14:15], v[12:13], 1.0
	s_mov_b32 s55, 0
	v_cmp_neq_f32_e64 s[56:57], s52, 0
	v_cmp_gt_f64_e64 s[2:3], s[4:5], v[10:11]
	s_mov_b64 s[58:59], 0
	v_cndmask_b32_e64 v16, 0, 1, s[2:3]
	v_ldexp_f64 v[10:11], v[10:11], v16
	v_rcp_f64_e32 v[16:17], v[14:15]
	v_add_f64 v[18:19], v[10:11], 1.0
	v_add_f64 v[28:29], v[10:11], -1.0
	v_rcp_f64_e32 v[20:21], v[18:19]
	v_fma_f64 v[22:23], -v[14:15], v[16:17], 1.0
	v_fma_f64 v[16:17], v[22:23], v[16:17], v[16:17]
	v_fma_f64 v[22:23], -v[18:19], v[20:21], 1.0
	v_fma_f64 v[24:25], -v[14:15], v[16:17], 1.0
	v_fma_f64 v[20:21], v[22:23], v[20:21], v[20:21]
	v_add_f64 v[22:23], v[12:13], -1.0
	v_fma_f64 v[16:17], v[24:25], v[16:17], v[16:17]
	v_fma_f64 v[24:25], -v[18:19], v[20:21], 1.0
	v_mul_f64 v[26:27], v[22:23], v[16:17]
	v_fma_f64 v[20:21], v[24:25], v[20:21], v[20:21]
	v_add_f64 v[24:25], v[14:15], -1.0
	v_mul_f64 v[30:31], v[14:15], v[26:27]
	v_mul_f64 v[32:33], v[28:29], v[20:21]
	v_add_f64 v[12:13], v[12:13], -v[24:25]
	v_fma_f64 v[14:15], v[26:27], v[14:15], -v[30:31]
	v_add_f64 v[24:25], v[18:19], -1.0
	v_mul_f64 v[36:37], v[18:19], v[32:33]
	v_fma_f64 v[12:13], v[26:27], v[12:13], v[14:15]
	v_add_f64 v[10:11], v[10:11], -v[24:25]
	v_fma_f64 v[14:15], v[32:33], v[18:19], -v[36:37]
	v_add_f64 v[18:19], v[30:31], v[12:13]
	v_fma_f64 v[10:11], v[32:33], v[10:11], v[14:15]
	v_add_f64 v[14:15], v[22:23], -v[18:19]
	v_add_f64 v[30:31], v[18:19], -v[30:31]
	v_add_f64 v[24:25], v[36:37], v[10:11]
	v_add_f64 v[22:23], v[22:23], -v[14:15]
	v_add_f64 v[12:13], v[30:31], -v[12:13]
	v_mov_b32_e32 v31, s9
	v_mov_b32_e32 v30, s8
	s_mov_b32 s8, 0x3abe935a
	s_mov_b32 s9, 0x3fbe25e4
	v_add_f64 v[38:39], v[28:29], -v[24:25]
	v_add_f64 v[18:19], v[22:23], -v[18:19]
	;; [unrolled: 1-line block ×4, first 2 shown]
	v_add_f64 v[12:13], v[12:13], v[18:19]
	v_add_f64 v[10:11], v[22:23], -v[10:11]
	v_add_f64 v[18:19], v[28:29], -v[24:25]
	v_add_f64 v[12:13], v[14:15], v[12:13]
	v_add_f64 v[10:11], v[10:11], v[18:19]
	v_mul_f64 v[12:13], v[16:17], v[12:13]
	v_add_f64 v[10:11], v[38:39], v[10:11]
	v_add_f64 v[16:17], v[26:27], v[12:13]
	v_mul_f64 v[18:19], v[20:21], v[10:11]
	v_add_f64 v[10:11], v[16:17], -v[26:27]
	v_mul_f64 v[20:21], v[16:17], v[16:17]
	v_add_f64 v[14:15], v[32:33], v[18:19]
	v_add_f64 v[10:11], v[12:13], -v[10:11]
	v_fma_f64 v[22:23], v[16:17], v[16:17], -v[20:21]
	v_add_f64 v[12:13], v[14:15], -v[32:33]
	v_mul_f64 v[26:27], v[14:15], v[14:15]
	v_add_f64 v[24:25], v[10:11], v[10:11]
	v_add_f64 v[12:13], v[18:19], -v[12:13]
	v_fma_f64 v[18:19], v[16:17], v[24:25], v[22:23]
	v_fma_f64 v[22:23], v[14:15], v[14:15], -v[26:27]
	v_add_f64 v[24:25], v[12:13], v[12:13]
	v_add_f64 v[28:29], v[20:21], v[18:19]
	v_fma_f64 v[22:23], v[14:15], v[24:25], v[22:23]
	v_fma_f64 v[24:25], v[28:29], s[12:13], v[30:31]
	v_add_f64 v[20:21], v[28:29], -v[20:21]
	v_add_f64 v[32:33], v[26:27], v[22:23]
	v_fma_f64 v[24:25], v[28:29], v[24:25], s[8:9]
	v_add_f64 v[18:19], v[18:19], -v[20:21]
	v_fma_f64 v[30:31], v[32:33], s[12:13], v[30:31]
	s_mov_b32 s12, 0xcfa74449
	v_fma_f64 v[24:25], v[28:29], v[24:25], s[14:15]
	s_mov_b32 s13, 0x3fc3b13b
	v_add_f64 v[26:27], v[32:33], -v[26:27]
	v_fma_f64 v[30:31], v[32:33], v[30:31], s[8:9]
	s_mov_b32 s8, 0x71bf3c30
	v_fma_f64 v[24:25], v[28:29], v[24:25], s[12:13]
	s_mov_b32 s9, 0x3fc745d1
	;; [unrolled: 5-line block ×3, first 2 shown]
	v_fma_f64 v[30:31], v[32:33], v[30:31], s[12:13]
	s_mov_b32 s12, 0x924920da
	v_fma_f64 v[24:25], v[28:29], v[24:25], s[14:15]
	s_mov_b32 s13, 0x3fd24924
	;; [unrolled: 2-line block ×7, first 2 shown]
	v_mul_f64 v[36:37], v[28:29], v[24:25]
	s_mov_b32 s13, 0x3c8543b0
	v_fma_f64 v[20:21], v[32:33], v[30:31], s[8:9]
	s_mov_b32 s9, 0xbfe55555
	v_fma_f64 v[30:31], v[28:29], v[24:25], -v[36:37]
	s_mov_b32 s8, s4
	v_mul_f64 v[38:39], v[32:33], v[20:21]
	v_fma_f64 v[24:25], v[18:19], v[24:25], v[30:31]
	v_mul_f64 v[30:31], v[16:17], v[28:29]
	v_fma_f64 v[26:27], v[32:33], v[20:21], -v[38:39]
	v_add_f64 v[40:41], v[36:37], v[24:25]
	v_fma_f64 v[42:43], v[28:29], v[16:17], -v[30:31]
	v_fma_f64 v[20:21], v[22:23], v[20:21], v[26:27]
	v_add_f64 v[26:27], v[40:41], -v[36:37]
	v_add_f64 v[36:37], v[40:41], s[4:5]
	v_fma_f64 v[28:29], v[28:29], v[10:11], v[42:43]
	v_ldexp_f64 v[10:11], v[10:11], 1
	v_add_f64 v[42:43], v[38:39], v[20:21]
	v_add_f64 v[24:25], v[24:25], -v[26:27]
	v_add_f64 v[26:27], v[36:37], s[8:9]
	v_fma_f64 v[18:19], v[18:19], v[16:17], v[28:29]
	v_mul_f64 v[28:29], v[14:15], v[32:33]
	v_ldexp_f64 v[16:17], v[16:17], 1
	v_add_f64 v[38:39], v[42:43], -v[38:39]
	v_add_f64 v[24:25], v[24:25], s[12:13]
	v_add_f64 v[26:27], v[40:41], -v[26:27]
	v_add_f64 v[40:41], v[42:43], s[4:5]
	s_mov_b32 s4, 0xfefa39ef
	s_mov_b32 s5, 0x3fe62e42
	v_add_f64 v[20:21], v[20:21], -v[38:39]
	v_fma_f64 v[38:39], v[32:33], v[14:15], -v[28:29]
	v_add_f64 v[24:25], v[24:25], v[26:27]
	v_add_f64 v[26:27], v[40:41], s[8:9]
	s_mov_b32 s8, 0x3b39803f
	s_mov_b32 s9, 0x3c7abc9e
	v_add_f64 v[20:21], v[20:21], s[12:13]
	v_fma_f64 v[32:33], v[32:33], v[12:13], v[38:39]
	v_ldexp_f64 v[12:13], v[12:13], 1
	v_add_f64 v[38:39], v[36:37], v[24:25]
	v_add_f64 v[26:27], v[42:43], -v[26:27]
	v_add_f64 v[42:43], v[30:31], v[18:19]
	s_mov_b32 s12, 0x652b82fe
	s_mov_b32 s13, 0x3ff71547
	v_fma_f64 v[22:23], v[22:23], v[14:15], v[32:33]
	v_ldexp_f64 v[14:15], v[14:15], 1
	v_add_f64 v[20:21], v[20:21], v[26:27]
	v_add_f64 v[26:27], v[36:37], -v[38:39]
	v_mul_f64 v[36:37], v[42:43], v[38:39]
	v_add_f64 v[30:31], v[42:43], -v[30:31]
	v_add_f64 v[32:33], v[40:41], v[20:21]
	v_add_f64 v[24:25], v[24:25], v[26:27]
	v_fma_f64 v[26:27], v[42:43], v[38:39], -v[36:37]
	v_add_f64 v[18:19], v[18:19], -v[30:31]
	v_add_f64 v[40:41], v[40:41], -v[32:33]
	v_fma_f64 v[24:25], v[42:43], v[24:25], v[26:27]
	v_add_f64 v[26:27], v[28:29], v[22:23]
	v_add_f64 v[20:21], v[20:21], v[40:41]
	v_fma_f64 v[18:19], v[18:19], v[38:39], v[24:25]
	v_mul_f64 v[42:43], v[26:27], v[32:33]
	v_add_f64 v[28:29], v[26:27], -v[28:29]
	v_frexp_exp_i32_f64_e32 v24, v[2:3]
	v_fma_f64 v[40:41], v[26:27], v[32:33], -v[42:43]
	v_add_f64 v[22:23], v[22:23], -v[28:29]
	v_subbrev_co_u32_e32 v24, vcc, 0, v24, vcc
	v_cvt_f64_i32_e32 v[24:25], v24
	v_fma_f64 v[20:21], v[26:27], v[20:21], v[40:41]
	v_fma_f64 v[20:21], v[22:23], v[32:33], v[20:21]
	v_add_f64 v[22:23], v[36:37], v[18:19]
	v_frexp_exp_i32_f64_e32 v32, v[6:7]
	v_add_f64 v[26:27], v[42:43], v[20:21]
	v_add_f64 v[28:29], v[22:23], -v[36:37]
	v_add_f64 v[30:31], v[16:17], v[22:23]
	v_subbrev_co_u32_e64 v32, vcc, 0, v32, s[2:3]
	v_cvt_f64_i32_e32 v[32:33], v32
	v_mul_f64 v[36:37], v[24:25], s[4:5]
	v_add_f64 v[38:39], v[26:27], -v[42:43]
	v_add_f64 v[40:41], v[14:15], v[26:27]
	v_add_f64 v[18:19], v[18:19], -v[28:29]
	v_add_f64 v[16:17], v[30:31], -v[16:17]
	v_mul_f64 v[28:29], v[32:33], s[4:5]
	v_add_f64 v[20:21], v[20:21], -v[38:39]
	v_add_f64 v[14:15], v[40:41], -v[14:15]
	v_fma_f64 v[38:39], v[24:25], s[4:5], -v[36:37]
	v_add_f64 v[10:11], v[10:11], v[18:19]
	v_add_f64 v[16:17], v[22:23], -v[16:17]
	v_fma_f64 v[18:19], v[32:33], s[4:5], -v[28:29]
	s_mov_b32 s5, 0xbfe62e42
	v_add_f64 v[12:13], v[12:13], v[20:21]
	v_add_f64 v[14:15], v[26:27], -v[14:15]
	v_fma_f64 v[20:21], v[24:25], s[8:9], v[38:39]
	v_add_f64 v[10:11], v[10:11], v[16:17]
	v_fma_f64 v[16:17], v[32:33], s[8:9], v[18:19]
	s_mov_b32 s9, 0xbc7abc9e
	v_add_f64 v[12:13], v[12:13], v[14:15]
	v_add_f64 v[14:15], v[36:37], v[20:21]
	;; [unrolled: 1-line block ×5, first 2 shown]
	v_add_f64 v[36:37], v[14:15], -v[36:37]
	v_add_f64 v[26:27], v[14:15], v[18:19]
	v_add_f64 v[30:31], v[18:19], -v[30:31]
	v_add_f64 v[28:29], v[22:23], -v[28:29]
	v_add_f64 v[32:33], v[22:23], v[24:25]
	v_add_f64 v[20:21], v[20:21], -v[36:37]
	v_add_f64 v[40:41], v[24:25], -v[40:41]
	;; [unrolled: 1-line block ×9, first 2 shown]
	v_add_f64 v[28:29], v[20:21], v[10:11]
	v_trunc_f64_e32 v[40:41], v[8:9]
	v_add_f64 v[30:31], v[32:33], -v[42:43]
	v_add_f64 v[24:25], v[24:25], -v[42:43]
	;; [unrolled: 1-line block ×4, first 2 shown]
	v_add_f64 v[14:15], v[18:19], v[14:15]
	v_add_f64 v[18:19], v[16:17], v[12:13]
	;; [unrolled: 1-line block ×3, first 2 shown]
	v_add_f64 v[24:25], v[28:29], -v[20:21]
	v_add_f64 v[14:15], v[28:29], v[14:15]
	v_add_f64 v[30:31], v[18:19], -v[16:17]
	v_add_f64 v[22:23], v[18:19], v[22:23]
	v_add_f64 v[28:29], v[28:29], -v[24:25]
	v_add_f64 v[10:11], v[10:11], -v[24:25]
	v_add_f64 v[36:37], v[26:27], v[14:15]
	v_add_f64 v[18:19], v[18:19], -v[30:31]
	;; [unrolled: 3-line block ×3, first 2 shown]
	v_add_f64 v[24:25], v[36:37], -v[26:27]
	v_add_f64 v[16:17], v[16:17], -v[18:19]
	;; [unrolled: 1-line block ×3, first 2 shown]
	v_add_f64 v[10:11], v[10:11], v[20:21]
	v_add_f64 v[14:15], v[14:15], -v[24:25]
	v_add_f64 v[12:13], v[12:13], v[16:17]
	v_add_f64 v[16:17], v[22:23], -v[18:19]
	v_add_f64 v[10:11], v[10:11], v[14:15]
	v_add_f64 v[12:13], v[12:13], v[16:17]
	;; [unrolled: 1-line block ×4, first 2 shown]
	v_add_f64 v[20:21], v[14:15], -v[36:37]
	v_mul_f64 v[16:17], v[8:9], v[14:15]
	v_add_f64 v[22:23], v[18:19], -v[38:39]
	v_mul_f64 v[24:25], v[4:5], v[18:19]
	v_add_f64 v[10:11], v[10:11], -v[20:21]
	v_fma_f64 v[14:15], v[8:9], v[14:15], -v[16:17]
	v_cmp_class_f64_e64 vcc, v[16:17], s33
	v_add_f64 v[12:13], v[12:13], -v[22:23]
	v_fma_f64 v[18:19], v[4:5], v[18:19], -v[24:25]
	v_cmp_class_f64_e64 s[2:3], v[24:25], s33
	v_fma_f64 v[14:15], v[8:9], v[10:11], v[14:15]
	v_fma_f64 v[18:19], v[4:5], v[12:13], v[18:19]
	v_add_f64 v[20:21], v[16:17], v[14:15]
	v_add_f64 v[28:29], v[24:25], v[18:19]
	v_cndmask_b32_e32 v13, v21, v17, vcc
	v_cndmask_b32_e32 v12, v20, v16, vcc
	v_mul_f64 v[22:23], v[12:13], s[12:13]
	v_cmp_eq_f64_e32 vcc, v[44:45], v[4:5]
	v_add_f64 v[16:17], v[20:21], -v[16:17]
	v_cndmask_b32_e64 v11, v29, v25, s[2:3]
	v_cndmask_b32_e64 v10, v28, v24, s[2:3]
	v_mul_f64 v[30:31], v[10:11], s[12:13]
	s_mov_b32 s2, 0xfca7ab0c
	s_mov_b32 s3, 0x3e928af3
	v_rndne_f64_e32 v[26:27], v[22:23]
	s_mov_b32 s12, 0x1852b7b0
	s_mov_b32 s13, 0x3f56c16c
	v_add_f64 v[24:25], v[28:29], -v[24:25]
	v_mul_f64 v[45:46], v[4:5], 0.5
	v_rndne_f64_e32 v[22:23], v[30:31]
	v_add_f64 v[14:15], v[14:15], -v[16:17]
	v_lshlrev_b64 v[4:5], 2, v[0:1]
	v_fma_f64 v[30:31], v[26:27], s[4:5], v[12:13]
	v_add_f64 v[18:19], v[18:19], -v[24:25]
	v_fma_f64 v[36:37], v[22:23], s[4:5], v[10:11]
	s_mov_b32 s4, 0x6a5dcb37
	s_mov_b32 s5, 0x3e5ade15
	v_fma_f64 v[32:33], v[26:27], s[8:9], v[30:31]
	v_fma_f64 v[30:31], v[22:23], s[8:9], v[36:37]
	v_mov_b32_e32 v37, s3
	v_mov_b32_e32 v36, s2
	v_fma_f64 v[38:39], v[32:33], s[4:5], v[36:37]
	s_mov_b32 s2, 0x623fde64
	s_mov_b32 s3, 0x3ec71dee
	;; [unrolled: 1-line block ×4, first 2 shown]
	v_fma_f64 v[36:37], v[30:31], s[4:5], v[36:37]
	s_mov_b32 s4, 11
	s_mov_b32 s5, 0x3fe00000
	v_fma_f64 v[38:39], v[32:33], v[38:39], s[2:3]
	v_fma_f64 v[36:37], v[30:31], v[36:37], s[2:3]
	s_mov_b32 s2, 0x7c89e6b0
	s_mov_b32 s3, 0x3efa0199
	v_fma_f64 v[38:39], v[32:33], v[38:39], s[2:3]
	;; [unrolled: 4-line block ×3, first 2 shown]
	v_fma_f64 v[36:37], v[30:31], v[36:37], s[2:3]
	v_cmp_eq_f64_e64 s[2:3], v[40:41], v[8:9]
	v_fma_f64 v[38:39], v[32:33], v[38:39], s[12:13]
	v_fma_f64 v[42:43], v[30:31], v[36:37], s[12:13]
	v_mov_b32_e32 v36, 0x7ff00000
	v_fma_f64 v[37:38], v[32:33], v[38:39], s[14:15]
	v_mul_f64 v[39:40], v[8:9], 0.5
	v_mov_b32_e32 v8, 0x260
	v_mov_b32_e32 v9, s52
	v_mul_f32_e32 v9, s29, v9
	v_fma_f64 v[41:42], v[30:31], v[42:43], s[14:15]
	v_cmp_class_f64_e64 s[14:15], v[2:3], s33
	v_fma_f64 v[37:38], v[32:33], v[37:38], s[60:61]
	v_trunc_f64_e32 v[43:44], v[39:40]
	v_fma_f64 v[41:42], v[30:31], v[41:42], s[60:61]
	s_cselect_b64 s[60:61], -1, 0
	s_bitcmp1_b32 s11, 16
	v_fma_f64 v[37:38], v[32:33], v[37:38], s[8:9]
	v_cmp_neq_f64_e64 s[6:7], v[43:44], v[39:40]
	v_cmp_eq_f64_e64 s[10:11], 0, v[6:7]
	v_cvt_i32_f64_e32 v6, v[22:23]
	v_fma_f64 v[39:40], v[30:31], v[41:42], s[8:9]
	v_cmp_eq_f64_e64 s[8:9], 0, v[2:3]
	v_cvt_i32_f64_e32 v2, v[26:27]
	v_fma_f64 v[37:38], v[32:33], v[37:38], s[4:5]
	v_trunc_f64_e32 v[41:42], v[45:46]
	v_fma_f64 v[39:40], v[30:31], v[39:40], s[4:5]
	s_cselect_b64 s[4:5], -1, 0
	s_xor_b64 s[62:63], s[4:5], -1
	v_fma_f64 v[37:38], v[32:33], v[37:38], 1.0
	s_or_b64 s[4:5], s[8:9], s[14:15]
	v_cmp_neq_f64_e64 s[14:15], |v[10:11]|, s[16:17]
	s_and_b64 s[8:9], s[8:9], exec
	s_cselect_b32 s67, 0, 0x7ff00000
	v_fma_f64 v[39:40], v[30:31], v[39:40], 1.0
	s_and_b64 s[2:3], s[2:3], s[6:7]
	v_cmp_neq_f64_e64 s[6:7], |v[12:13]|, s[16:17]
	v_fma_f64 v[28:29], v[32:33], v[37:38], 1.0
	v_cmp_ngt_f64_e64 s[16:17], s[20:21], v[12:13]
	v_cndmask_b32_e64 v19, 0, v19, s[14:15]
	v_cndmask_b32_e64 v18, 0, v18, s[14:15]
	v_cmp_nlt_f64_e64 s[14:15], s[18:19], v[12:13]
	v_fma_f64 v[20:21], v[30:31], v[39:40], 1.0
	v_cmp_nlt_f64_e64 s[18:19], s[18:19], v[10:11]
	v_cmp_ngt_f64_e64 s[20:21], s[20:21], v[10:11]
	v_ldexp_f64 v[22:23], v[28:29], v2
	s_or_b64 s[8:9], s[10:11], s[64:65]
	v_cndmask_b32_e64 v12, 0, v15, s[6:7]
	v_cndmask_b32_e64 v11, 0, v14, s[6:7]
	s_and_b64 s[6:7], s[16:17], s[14:15]
	v_ldexp_f64 v[16:17], v[20:21], v6
	v_cmp_neq_f64_e64 s[12:13], v[41:42], v[45:46]
	v_cndmask_b32_e64 v20, 0, v22, s[6:7]
	s_and_b64 s[6:7], s[10:11], exec
	s_cselect_b32 s10, 0, 0x7ff00000
	s_and_b64 s[6:7], s[20:21], s[18:19]
	v_cndmask_b32_e64 v2, v36, v23, s[14:15]
	v_cndmask_b32_e64 v6, v36, v17, s[18:19]
	;; [unrolled: 1-line block ×4, first 2 shown]
	v_fma_f64 v[15:16], v[13:14], v[18:19], v[13:14]
	v_cmp_class_f64_e64 s[6:7], v[13:14], s33
	v_cndmask_b32_e64 v21, 0, v2, s[16:17]
	s_and_b64 vcc, vcc, s[12:13]
	v_fma_f64 v[10:11], v[20:21], v[11:12], v[20:21]
	v_cndmask_b32_e32 v2, 0, v7, vcc
	v_cndmask_b32_e32 v6, v35, v7, vcc
	v_mov_b32_e32 v7, s10
	v_bfi_b32 v2, s66, v7, v2
	v_cndmask_b32_e64 v12, v16, v14, s[6:7]
	v_cndmask_b32_e64 v7, v15, v13, s[6:7]
	v_bfi_b32 v12, s66, v12, v6
	v_cndmask_b32_e64 v6, v7, 0, s[8:9]
	v_cndmask_b32_e64 v7, v12, v2, s[8:9]
	v_add_f64 v[6:7], -v[6:7], 1.0
	v_cmp_class_f64_e64 vcc, v[20:21], s33
	v_cndmask_b32_e64 v14, 0, v3, s[2:3]
	v_cndmask_b32_e64 v3, v35, v3, s[2:3]
	v_mov_b32_e32 v2, s67
	v_bfi_b32 v14, s66, v2, v14
	v_lshlrev_b64 v[12:13], 1, v[0:1]
	s_cmp_lg_u64 s[40:41], 0
	v_cvt_f32_f64_e32 v15, v[6:7]
	v_cndmask_b32_e32 v6, v11, v21, vcc
	v_bfi_b32 v3, s66, v6, v3
	v_cndmask_b32_e32 v2, v10, v20, vcc
	v_div_scale_f32 v16, s[2:3], v15, v15, s29
	v_cndmask_b32_e64 v3, v3, v14, s[4:5]
	v_div_scale_f32 v14, vcc, s29, v15, s29
	v_cndmask_b32_e64 v2, v2, 0, s[4:5]
	v_add_f64 v[6:7], -v[2:3], 1.0
	v_add_co_u32_e64 v2, s[2:3], s40, v12
	v_mov_b32_e32 v3, s41
	v_addc_co_u32_e64 v3, s[2:3], v3, v13, s[2:3]
	v_sub_f32_e64 v10, 1.0, s31
	v_sub_f32_e64 v11, 1.0, s30
	v_cvt_f32_f64_e32 v6, v[6:7]
	s_cselect_b64 s[4:5], -1, 0
	v_rcp_f32_e32 v12, v16
	s_lshl_b64 s[6:7], s[54:55], 2
	v_mul_f32_e32 v7, 0x4f800000, v6
	v_cmp_gt_f32_e64 s[2:3], s28, v6
	v_fma_f32 v13, -v16, v12, 1.0
	v_fmac_f32_e32 v12, v13, v12
	v_mul_f32_e32 v13, v14, v12
	v_fma_f32 v17, -v16, v13, v14
	v_fmac_f32_e32 v13, v17, v12
	v_fma_f32 v14, -v16, v13, v14
	v_div_fmas_f32 v13, v14, v12, v13
	v_cndmask_b32_e64 v6, v6, v7, s[2:3]
	v_sqrt_f32_e32 v7, v6
	s_lshl_b64 s[8:9], s[54:55], 1
	v_add_u32_e32 v12, -1, v7
	v_add_u32_e32 v14, 1, v7
	v_fma_f32 v16, -v12, v7, v6
	v_fma_f32 v17, -v14, v7, v6
	v_cmp_ge_f32_e32 vcc, 0, v16
	v_cndmask_b32_e32 v7, v7, v12, vcc
	v_cmp_lt_f32_e32 vcc, 0, v17
	v_cndmask_b32_e32 v7, v7, v14, vcc
	v_mul_f32_e32 v12, 0x37800000, v7
	v_cndmask_b32_e64 v7, v7, v12, s[2:3]
	v_cmp_class_f32_e32 vcc, v6, v8
	v_cndmask_b32_e32 v12, v7, v6, vcc
	v_div_fixup_f32 v13, v13, v15, s29
	s_branch .LBB2_23
.LBB2_22:                               ;   in Loop: Header=BB2_23 Depth=1
	s_add_u32 s42, s42, s6
	s_addc_u32 s43, s43, s7
	s_add_u32 s36, s36, s6
	s_addc_u32 s37, s37, s7
	;; [unrolled: 2-line block ×7, first 2 shown]
	v_add_co_u32_e32 v0, vcc, s54, v0
	s_add_u32 s46, s46, s6
	v_addc_co_u32_e32 v1, vcc, 0, v1, vcc
	s_addc_u32 s47, s47, s7
	s_add_u32 s50, s50, s6
	v_cmp_le_u64_e32 vcc, s[22:23], v[0:1]
	s_addc_u32 s51, s51, s7
	v_mov_b32_e32 v6, s9
	s_or_b64 s[58:59], vcc, s[58:59]
	v_add_co_u32_e32 v2, vcc, s8, v2
	v_addc_co_u32_e32 v3, vcc, v3, v6, vcc
	s_andn2_b64 exec, exec, s[58:59]
	s_cbranch_execz .LBB2_34
.LBB2_23:                               ; =>This Inner Loop Header: Depth=1
	v_mov_b32_e32 v7, s43
	v_add_co_u32_e32 v6, vcc, s42, v4
	v_addc_co_u32_e32 v7, vcc, v7, v5, vcc
	global_load_dword v15, v[6:7], off
	v_mov_b32_e32 v7, s37
	v_add_co_u32_e32 v6, vcc, s36, v4
	v_addc_co_u32_e32 v7, vcc, v7, v5, vcc
	v_mov_b32_e32 v14, s45
	v_add_co_u32_e32 v17, vcc, s44, v4
	v_addc_co_u32_e32 v18, vcc, v14, v5, vcc
	;; [unrolled: 3-line block ×3, first 2 shown]
	global_load_dword v14, v[6:7], off
	s_nop 0
	global_load_dword v6, v[17:18], off
	global_load_dword v16, v[19:20], off
	s_waitcnt vmcnt(3)
	v_div_scale_f32 v7, s[2:3], v34, v34, v15
	v_div_scale_f32 v17, vcc, v15, v34, v15
	v_rcp_f32_e32 v18, v7
	v_fma_f32 v19, -v7, v18, 1.0
	v_fmac_f32_e32 v18, v19, v18
	v_mul_f32_e32 v19, v17, v18
	v_fma_f32 v20, -v7, v19, v17
	v_fmac_f32_e32 v19, v20, v18
	v_fma_f32 v7, -v7, v19, v17
	v_div_fmas_f32 v7, v7, v18, v19
	s_andn2_b64 vcc, exec, s[56:57]
	v_div_fixup_f32 v7, v7, v34, v15
	v_cndmask_b32_e64 v7, v7, v15, s[0:1]
	v_cndmask_b32_e64 v7, v7, -v7, s[60:61]
	s_cbranch_vccnz .LBB2_29
; %bb.24:                               ;   in Loop: Header=BB2_23 Depth=1
	s_mov_b64 s[2:3], -1
	s_and_b64 vcc, exec, s[62:63]
                                        ; implicit-def: $vgpr15
	s_cbranch_vccz .LBB2_26
; %bb.25:                               ;   in Loop: Header=BB2_23 Depth=1
	s_waitcnt vmcnt(2)
	v_fma_f32 v15, s52, v14, v7
	s_mov_b64 s[2:3], 0
.LBB2_26:                               ;   in Loop: Header=BB2_23 Depth=1
	s_andn2_b64 vcc, exec, s[2:3]
	s_cbranch_vccnz .LBB2_28
; %bb.27:                               ;   in Loop: Header=BB2_23 Depth=1
	s_waitcnt vmcnt(2)
	v_fma_f32 v14, -v9, v14, v14
	s_branch .LBB2_29
.LBB2_28:                               ;   in Loop: Header=BB2_23 Depth=1
	v_mov_b32_e32 v7, v15
.LBB2_29:                               ;   in Loop: Header=BB2_23 Depth=1
	v_mul_f32_e32 v15, v7, v7
	v_mul_f32_e32 v15, v10, v15
	s_waitcnt vmcnt(0)
	v_fmac_f32_e32 v15, s31, v16
	s_andn2_b64 vcc, exec, s[34:35]
	v_mov_b32_e32 v16, v15
	s_cbranch_vccnz .LBB2_31
; %bb.30:                               ;   in Loop: Header=BB2_23 Depth=1
	v_mov_b32_e32 v17, s25
	v_add_co_u32_e32 v16, vcc, s24, v4
	v_addc_co_u32_e32 v17, vcc, v17, v5, vcc
	global_load_dword v16, v[16:17], off
	v_max_f32_e32 v17, v15, v15
	v_mov_b32_e32 v18, s27
	s_waitcnt vmcnt(0)
	v_max_f32_e32 v16, v16, v16
	v_max_f32_e32 v16, v16, v17
	v_add_co_u32_e32 v17, vcc, s26, v4
	v_addc_co_u32_e32 v18, vcc, v18, v5, vcc
	global_store_dword v[17:18], v16, off
.LBB2_31:                               ;   in Loop: Header=BB2_23 Depth=1
	v_mul_f32_e32 v17, 0x4f800000, v16
	v_cmp_gt_f32_e32 vcc, s28, v16
	v_cndmask_b32_e32 v16, v16, v17, vcc
	v_sqrt_f32_e32 v17, v16
	v_add_u32_e32 v18, -1, v17
	v_fma_f32 v20, -v18, v17, v16
	v_add_u32_e32 v19, 1, v17
	v_cmp_ge_f32_e64 s[2:3], 0, v20
	v_cndmask_b32_e64 v18, v17, v18, s[2:3]
	v_fma_f32 v17, -v19, v17, v16
	v_cmp_lt_f32_e64 s[2:3], 0, v17
	v_cndmask_b32_e64 v17, v18, v19, s[2:3]
	v_mul_f32_e32 v18, 0x37800000, v17
	v_cndmask_b32_e32 v17, v17, v18, vcc
	v_cmp_class_f32_e32 vcc, v16, v8
	v_cndmask_b32_e32 v16, v17, v16, vcc
	v_div_scale_f32 v17, s[2:3], v12, v12, v16
	v_div_scale_f32 v18, vcc, v16, v12, v16
	v_rcp_f32_e32 v19, v17
	v_fma_f32 v20, -v17, v19, 1.0
	v_fmac_f32_e32 v19, v20, v19
	v_mul_f32_e32 v20, v18, v19
	v_fma_f32 v21, -v17, v20, v18
	v_fmac_f32_e32 v20, v21, v19
	v_fma_f32 v17, -v17, v20, v18
	v_div_fmas_f32 v17, v17, v19, v20
	v_mul_f32_e32 v20, v11, v7
	v_fmac_f32_e32 v20, s30, v6
	v_mul_f32_e32 v21, v13, v20
	v_mov_b32_e32 v18, s47
	v_mov_b32_e32 v19, s51
	v_div_fixup_f32 v6, v17, v12, v16
	v_add_f32_e32 v22, s53, v6
	v_div_scale_f32 v6, s[2:3], v22, v22, v21
	v_div_scale_f32 v7, vcc, v21, v22, v21
	v_mov_b32_e32 v17, s39
	v_rcp_f32_e32 v16, v6
	v_fma_f32 v23, -v6, v16, 1.0
	v_fmac_f32_e32 v16, v23, v16
	v_mul_f32_e32 v23, v7, v16
	v_fma_f32 v24, -v6, v23, v7
	v_fmac_f32_e32 v23, v24, v16
	v_fma_f32 v6, -v6, v23, v7
	v_div_fmas_f32 v23, v6, v16, v23
	v_add_co_u32_e32 v6, vcc, s38, v4
	v_addc_co_u32_e32 v7, vcc, v17, v5, vcc
	v_add_co_u32_e32 v16, vcc, s46, v4
	v_addc_co_u32_e32 v17, vcc, v18, v5, vcc
	;; [unrolled: 2-line block ×3, first 2 shown]
	s_andn2_b64 vcc, exec, s[4:5]
	v_div_fixup_f32 v21, v23, v22, v21
	v_sub_f32_e32 v14, v14, v21
	global_store_dword v[6:7], v14, off
	global_store_dword v[16:17], v20, off
	;; [unrolled: 1-line block ×3, first 2 shown]
	s_cbranch_vccnz .LBB2_22
; %bb.32:                               ;   in Loop: Header=BB2_23 Depth=1
	global_load_dword v6, v[6:7], off
	s_waitcnt vmcnt(0)
	v_cvt_f16_f32_e32 v6, v6
	global_store_short v[2:3], v6, off
	s_branch .LBB2_22
.LBB2_33:
	s_cbranch_execnz .LBB2_18
.LBB2_34:
	s_endpgm
	.section	.rodata,"a",@progbits
	.p2align	6, 0x0
	.amdhsa_kernel AmpAdamContiguous
		.amdhsa_group_segment_fixed_size 0
		.amdhsa_private_segment_fixed_size 0
		.amdhsa_kernarg_size 392
		.amdhsa_user_sgpr_count 6
		.amdhsa_user_sgpr_private_segment_buffer 1
		.amdhsa_user_sgpr_dispatch_ptr 0
		.amdhsa_user_sgpr_queue_ptr 0
		.amdhsa_user_sgpr_kernarg_segment_ptr 1
		.amdhsa_user_sgpr_dispatch_id 0
		.amdhsa_user_sgpr_flat_scratch_init 0
		.amdhsa_user_sgpr_private_segment_size 0
		.amdhsa_uses_dynamic_stack 0
		.amdhsa_system_sgpr_private_segment_wavefront_offset 0
		.amdhsa_system_sgpr_workgroup_id_x 1
		.amdhsa_system_sgpr_workgroup_id_y 0
		.amdhsa_system_sgpr_workgroup_id_z 0
		.amdhsa_system_sgpr_workgroup_info 0
		.amdhsa_system_vgpr_workitem_id 0
		.amdhsa_next_free_vgpr 47
		.amdhsa_next_free_sgpr 72
		.amdhsa_reserve_vcc 1
		.amdhsa_reserve_flat_scratch 0
		.amdhsa_float_round_mode_32 0
		.amdhsa_float_round_mode_16_64 0
		.amdhsa_float_denorm_mode_32 3
		.amdhsa_float_denorm_mode_16_64 3
		.amdhsa_dx10_clamp 1
		.amdhsa_ieee_mode 1
		.amdhsa_fp16_overflow 0
		.amdhsa_exception_fp_ieee_invalid_op 0
		.amdhsa_exception_fp_denorm_src 0
		.amdhsa_exception_fp_ieee_div_zero 0
		.amdhsa_exception_fp_ieee_overflow 0
		.amdhsa_exception_fp_ieee_underflow 0
		.amdhsa_exception_fp_ieee_inexact 0
		.amdhsa_exception_int_div_zero 0
	.end_amdhsa_kernel
	.text
.Lfunc_end2:
	.size	AmpAdamContiguous, .Lfunc_end2-AmpAdamContiguous
                                        ; -- End function
	.set AmpAdamContiguous.num_vgpr, 47
	.set AmpAdamContiguous.num_agpr, 0
	.set AmpAdamContiguous.numbered_sgpr, 72
	.set AmpAdamContiguous.num_named_barrier, 0
	.set AmpAdamContiguous.private_seg_size, 0
	.set AmpAdamContiguous.uses_vcc, 1
	.set AmpAdamContiguous.uses_flat_scratch, 0
	.set AmpAdamContiguous.has_dyn_sized_stack, 0
	.set AmpAdamContiguous.has_recursion, 0
	.set AmpAdamContiguous.has_indirect_call, 0
	.section	.AMDGPU.csdata,"",@progbits
; Kernel info:
; codeLenInByte = 5144
; TotalNumSgprs: 76
; NumVgprs: 47
; ScratchSize: 0
; MemoryBound: 0
; FloatMode: 240
; IeeeMode: 1
; LDSByteSize: 0 bytes/workgroup (compile time only)
; SGPRBlocks: 9
; VGPRBlocks: 11
; NumSGPRsForWavesPerEU: 76
; NumVGPRsForWavesPerEU: 47
; Occupancy: 5
; WaveLimiterHint : 0
; COMPUTE_PGM_RSRC2:SCRATCH_EN: 0
; COMPUTE_PGM_RSRC2:USER_SGPR: 6
; COMPUTE_PGM_RSRC2:TRAP_HANDLER: 0
; COMPUTE_PGM_RSRC2:TGID_X_EN: 1
; COMPUTE_PGM_RSRC2:TGID_Y_EN: 0
; COMPUTE_PGM_RSRC2:TGID_Z_EN: 0
; COMPUTE_PGM_RSRC2:TIDIG_COMP_CNT: 0
	.text
	.protected	AdamUpdateStep          ; -- Begin function AdamUpdateStep
	.globl	AdamUpdateStep
	.p2align	8
	.type	AdamUpdateStep,@function
AdamUpdateStep:                         ; @AdamUpdateStep
; %bb.0:
	s_load_dword s0, s[4:5], 0x24
	v_sub_u32_e32 v0, 0, v0
	s_waitcnt lgkmcnt(0)
	s_and_b32 s0, s0, 0xffff
	s_mul_i32 s6, s6, s0
	v_cmp_eq_u32_e32 vcc, s6, v0
	s_and_saveexec_b64 s[0:1], vcc
	s_cbranch_execz .LBB3_10
; %bb.1:
	s_load_dwordx4 s[0:3], s[4:5], 0x0
	s_load_dwordx2 s[6:7], s[4:5], 0x10
	s_mov_b64 s[4:5], 0
	s_waitcnt lgkmcnt(0)
	s_cmp_eq_u64 s[0:1], 0
	s_cselect_b64 s[8:9], -1, 0
	s_and_b64 vcc, exec, s[8:9]
	s_cbranch_vccnz .LBB3_6
; %bb.2:
	v_mov_b32_e32 v0, 0
	global_load_ubyte v0, v0, s[0:1]
	s_waitcnt vmcnt(0)
	v_and_b32_e32 v0, 1, v0
	v_cmp_eq_u32_e32 vcc, 1, v0
	s_cbranch_vccz .LBB3_5
; %bb.3:
	s_cmp_lg_u64 s[2:3], s[6:7]
	s_mov_b64 s[8:9], 0
	s_cbranch_scc0 .LBB3_6
; %bb.4:
	s_load_dword s0, s[2:3], 0x0
	s_mov_b64 s[4:5], -1
	s_and_b64 vcc, exec, s[8:9]
	s_cbranch_vccnz .LBB3_7
	s_branch .LBB3_8
.LBB3_5:
	s_mov_b64 s[8:9], -1
.LBB3_6:
                                        ; implicit-def: $sgpr0
	s_and_b64 vcc, exec, s[8:9]
	s_cbranch_vccz .LBB3_8
.LBB3_7:
	s_waitcnt lgkmcnt(0)
	s_load_dword s0, s[2:3], 0x0
	s_mov_b64 s[4:5], -1
	s_waitcnt lgkmcnt(0)
	s_add_i32 s0, s0, 1
.LBB3_8:
	s_andn2_b64 vcc, exec, s[4:5]
	s_cbranch_vccnz .LBB3_10
; %bb.9:
	v_mov_b32_e32 v0, 0
	s_waitcnt lgkmcnt(0)
	v_mov_b32_e32 v1, s0
	global_store_dword v0, v1, s[6:7]
.LBB3_10:
	s_endpgm
	.section	.rodata,"a",@progbits
	.p2align	6, 0x0
	.amdhsa_kernel AdamUpdateStep
		.amdhsa_group_segment_fixed_size 0
		.amdhsa_private_segment_fixed_size 0
		.amdhsa_kernarg_size 280
		.amdhsa_user_sgpr_count 6
		.amdhsa_user_sgpr_private_segment_buffer 1
		.amdhsa_user_sgpr_dispatch_ptr 0
		.amdhsa_user_sgpr_queue_ptr 0
		.amdhsa_user_sgpr_kernarg_segment_ptr 1
		.amdhsa_user_sgpr_dispatch_id 0
		.amdhsa_user_sgpr_flat_scratch_init 0
		.amdhsa_user_sgpr_private_segment_size 0
		.amdhsa_uses_dynamic_stack 0
		.amdhsa_system_sgpr_private_segment_wavefront_offset 0
		.amdhsa_system_sgpr_workgroup_id_x 1
		.amdhsa_system_sgpr_workgroup_id_y 0
		.amdhsa_system_sgpr_workgroup_id_z 0
		.amdhsa_system_sgpr_workgroup_info 0
		.amdhsa_system_vgpr_workitem_id 0
		.amdhsa_next_free_vgpr 2
		.amdhsa_next_free_sgpr 10
		.amdhsa_reserve_vcc 1
		.amdhsa_reserve_flat_scratch 0
		.amdhsa_float_round_mode_32 0
		.amdhsa_float_round_mode_16_64 0
		.amdhsa_float_denorm_mode_32 3
		.amdhsa_float_denorm_mode_16_64 3
		.amdhsa_dx10_clamp 1
		.amdhsa_ieee_mode 1
		.amdhsa_fp16_overflow 0
		.amdhsa_exception_fp_ieee_invalid_op 0
		.amdhsa_exception_fp_denorm_src 0
		.amdhsa_exception_fp_ieee_div_zero 0
		.amdhsa_exception_fp_ieee_overflow 0
		.amdhsa_exception_fp_ieee_underflow 0
		.amdhsa_exception_fp_ieee_inexact 0
		.amdhsa_exception_int_div_zero 0
	.end_amdhsa_kernel
	.text
.Lfunc_end3:
	.size	AdamUpdateStep, .Lfunc_end3-AdamUpdateStep
                                        ; -- End function
	.set AdamUpdateStep.num_vgpr, 2
	.set AdamUpdateStep.num_agpr, 0
	.set AdamUpdateStep.numbered_sgpr, 10
	.set AdamUpdateStep.num_named_barrier, 0
	.set AdamUpdateStep.private_seg_size, 0
	.set AdamUpdateStep.uses_vcc, 1
	.set AdamUpdateStep.uses_flat_scratch, 0
	.set AdamUpdateStep.has_dyn_sized_stack, 0
	.set AdamUpdateStep.has_recursion, 0
	.set AdamUpdateStep.has_indirect_call, 0
	.section	.AMDGPU.csdata,"",@progbits
; Kernel info:
; codeLenInByte = 212
; TotalNumSgprs: 14
; NumVgprs: 2
; ScratchSize: 0
; MemoryBound: 0
; FloatMode: 240
; IeeeMode: 1
; LDSByteSize: 0 bytes/workgroup (compile time only)
; SGPRBlocks: 1
; VGPRBlocks: 0
; NumSGPRsForWavesPerEU: 14
; NumVGPRsForWavesPerEU: 2
; Occupancy: 10
; WaveLimiterHint : 0
; COMPUTE_PGM_RSRC2:SCRATCH_EN: 0
; COMPUTE_PGM_RSRC2:USER_SGPR: 6
; COMPUTE_PGM_RSRC2:TRAP_HANDLER: 0
; COMPUTE_PGM_RSRC2:TGID_X_EN: 1
; COMPUTE_PGM_RSRC2:TGID_Y_EN: 0
; COMPUTE_PGM_RSRC2:TGID_Z_EN: 0
; COMPUTE_PGM_RSRC2:TIDIG_COMP_CNT: 0
	.text
	.protected	TransformersAdamWContiguous ; -- Begin function TransformersAdamWContiguous
	.globl	TransformersAdamWContiguous
	.p2align	8
	.type	TransformersAdamWContiguous,@function
TransformersAdamWContiguous:            ; @TransformersAdamWContiguous
; %bb.0:
	s_load_dword s7, s[4:5], 0x64
	s_load_dwordx2 s[2:3], s[4:5], 0x50
	s_add_u32 s0, s4, 0x58
	s_addc_u32 s1, s5, 0
	v_mov_b32_e32 v1, 0
	s_waitcnt lgkmcnt(0)
	s_and_b32 s7, s7, 0xffff
	s_mul_i32 s6, s6, s7
	v_add_u32_e32 v0, s6, v0
	v_cmp_gt_u64_e32 vcc, s[2:3], v[0:1]
	s_and_saveexec_b64 s[8:9], vcc
	s_cbranch_execz .LBB4_3
; %bb.1:
	s_load_dword s6, s[0:1], 0x0
	s_load_dwordx8 s[8:15], s[4:5], 0x0
	s_load_dwordx4 s[24:27], s[4:5], 0x38
	s_load_dwordx8 s[16:23], s[4:5], 0x20
	s_load_dword s28, s[4:5], 0x48
	s_waitcnt lgkmcnt(0)
	s_mul_i32 s4, s6, s7
	s_mov_b32 s5, 0
	v_lshlrev_b64 v[2:3], 2, v[0:1]
	s_lshl_b64 s[6:7], s[4:5], 2
	v_sub_f32_e64 v4, 1.0, s24
	v_sub_f32_e64 v5, 1.0, s25
	s_mov_b64 s[22:23], 0
	v_mov_b32_e32 v6, s13
	v_mov_b32_e32 v7, s9
	v_mov_b32_e32 v8, s15
	v_mov_b32_e32 v9, s19
	s_mov_b32 s5, 0xf800000
	v_mov_b32_e32 v10, 0x260
	v_mov_b32_e32 v11, s11
	;; [unrolled: 1-line block ×5, first 2 shown]
.LBB4_2:                                ; =>This Inner Loop Header: Depth=1
	v_add_co_u32_e32 v15, vcc, s12, v2
	v_addc_co_u32_e32 v16, vcc, v6, v3, vcc
	v_add_co_u32_e32 v17, vcc, s14, v2
	v_addc_co_u32_e32 v18, vcc, v8, v3, vcc
	global_load_dword v19, v[17:18], off
	v_add_co_u32_e32 v17, vcc, s18, v2
	v_addc_co_u32_e32 v18, vcc, v9, v3, vcc
	global_load_dword v20, v[17:18], off
	global_load_dword v21, v[15:16], off
	s_waitcnt vmcnt(2)
	v_mul_f32_e32 v17, s24, v19
	s_waitcnt vmcnt(1)
	v_mul_f32_e32 v18, s25, v20
	;; [unrolled: 2-line block ×3, first 2 shown]
	v_fmac_f32_e32 v18, v5, v15
	v_mul_f32_e32 v15, 0x4f800000, v18
	v_cmp_gt_f32_e32 vcc, s5, v18
	v_cndmask_b32_e32 v15, v18, v15, vcc
	v_sqrt_f32_e32 v16, v15
	v_fmac_f32_e32 v17, v4, v21
	v_add_u32_e32 v19, -1, v16
	v_fma_f32 v20, -v19, v16, v15
	v_cmp_ge_f32_e64 s[0:1], 0, v20
	v_add_u32_e32 v20, 1, v16
	v_cndmask_b32_e64 v19, v16, v19, s[0:1]
	v_fma_f32 v16, -v20, v16, v15
	v_cmp_lt_f32_e64 s[0:1], 0, v16
	v_cndmask_b32_e64 v16, v19, v20, s[0:1]
	v_mul_f32_e32 v19, 0x37800000, v16
	v_cndmask_b32_e32 v16, v16, v19, vcc
	v_cmp_class_f32_e32 vcc, v15, v10
	v_cndmask_b32_e32 v15, v16, v15, vcc
	v_mul_f32_e32 v19, s28, v17
	v_add_f32_e32 v15, s26, v15
	v_div_scale_f32 v16, s[0:1], v15, v15, v19
	v_rcp_f32_e32 v20, v16
	v_fma_f32 v21, -v16, v20, 1.0
	v_fmac_f32_e32 v20, v21, v20
	v_div_scale_f32 v21, vcc, v19, v15, v19
	v_mul_f32_e32 v22, v21, v20
	v_fma_f32 v23, -v16, v22, v21
	v_fmac_f32_e32 v22, v23, v20
	v_fma_f32 v16, -v16, v22, v21
	v_div_fmas_f32 v16, v16, v20, v22
	v_div_fixup_f32 v19, v16, v15, v19
	v_add_co_u32_e32 v15, vcc, s8, v2
	v_addc_co_u32_e32 v16, vcc, v7, v3, vcc
	global_load_dword v15, v[15:16], off
	s_waitcnt vmcnt(0)
	v_sub_f32_e32 v19, v15, v19
	v_add_co_u32_e32 v15, vcc, s10, v2
	v_addc_co_u32_e32 v16, vcc, v11, v3, vcc
	v_fma_f32 v19, -s27, v19, v19
	global_store_dword v[15:16], v19, off
	v_add_co_u32_e32 v15, vcc, s16, v2
	v_addc_co_u32_e32 v16, vcc, v12, v3, vcc
	global_store_dword v[15:16], v17, off
	v_add_co_u32_e32 v15, vcc, s20, v2
	v_addc_co_u32_e32 v16, vcc, v13, v3, vcc
	v_add_co_u32_e32 v0, vcc, s4, v0
	v_addc_co_u32_e32 v1, vcc, 0, v1, vcc
	v_cmp_le_u64_e64 s[0:1], s[2:3], v[0:1]
	v_add_co_u32_e32 v2, vcc, s6, v2
	v_addc_co_u32_e32 v3, vcc, v3, v14, vcc
	s_or_b64 s[22:23], s[0:1], s[22:23]
	global_store_dword v[15:16], v18, off
	s_andn2_b64 exec, exec, s[22:23]
	s_cbranch_execnz .LBB4_2
.LBB4_3:
	s_endpgm
	.section	.rodata,"a",@progbits
	.p2align	6, 0x0
	.amdhsa_kernel TransformersAdamWContiguous
		.amdhsa_group_segment_fixed_size 0
		.amdhsa_private_segment_fixed_size 0
		.amdhsa_kernarg_size 344
		.amdhsa_user_sgpr_count 6
		.amdhsa_user_sgpr_private_segment_buffer 1
		.amdhsa_user_sgpr_dispatch_ptr 0
		.amdhsa_user_sgpr_queue_ptr 0
		.amdhsa_user_sgpr_kernarg_segment_ptr 1
		.amdhsa_user_sgpr_dispatch_id 0
		.amdhsa_user_sgpr_flat_scratch_init 0
		.amdhsa_user_sgpr_private_segment_size 0
		.amdhsa_uses_dynamic_stack 0
		.amdhsa_system_sgpr_private_segment_wavefront_offset 0
		.amdhsa_system_sgpr_workgroup_id_x 1
		.amdhsa_system_sgpr_workgroup_id_y 0
		.amdhsa_system_sgpr_workgroup_id_z 0
		.amdhsa_system_sgpr_workgroup_info 0
		.amdhsa_system_vgpr_workitem_id 0
		.amdhsa_next_free_vgpr 24
		.amdhsa_next_free_sgpr 29
		.amdhsa_reserve_vcc 1
		.amdhsa_reserve_flat_scratch 0
		.amdhsa_float_round_mode_32 0
		.amdhsa_float_round_mode_16_64 0
		.amdhsa_float_denorm_mode_32 3
		.amdhsa_float_denorm_mode_16_64 3
		.amdhsa_dx10_clamp 1
		.amdhsa_ieee_mode 1
		.amdhsa_fp16_overflow 0
		.amdhsa_exception_fp_ieee_invalid_op 0
		.amdhsa_exception_fp_denorm_src 0
		.amdhsa_exception_fp_ieee_div_zero 0
		.amdhsa_exception_fp_ieee_overflow 0
		.amdhsa_exception_fp_ieee_underflow 0
		.amdhsa_exception_fp_ieee_inexact 0
		.amdhsa_exception_int_div_zero 0
	.end_amdhsa_kernel
	.text
.Lfunc_end4:
	.size	TransformersAdamWContiguous, .Lfunc_end4-TransformersAdamWContiguous
                                        ; -- End function
	.set TransformersAdamWContiguous.num_vgpr, 24
	.set TransformersAdamWContiguous.num_agpr, 0
	.set TransformersAdamWContiguous.numbered_sgpr, 29
	.set TransformersAdamWContiguous.num_named_barrier, 0
	.set TransformersAdamWContiguous.private_seg_size, 0
	.set TransformersAdamWContiguous.uses_vcc, 1
	.set TransformersAdamWContiguous.uses_flat_scratch, 0
	.set TransformersAdamWContiguous.has_dyn_sized_stack, 0
	.set TransformersAdamWContiguous.has_recursion, 0
	.set TransformersAdamWContiguous.has_indirect_call, 0
	.section	.AMDGPU.csdata,"",@progbits
; Kernel info:
; codeLenInByte = 572
; TotalNumSgprs: 33
; NumVgprs: 24
; ScratchSize: 0
; MemoryBound: 0
; FloatMode: 240
; IeeeMode: 1
; LDSByteSize: 0 bytes/workgroup (compile time only)
; SGPRBlocks: 4
; VGPRBlocks: 5
; NumSGPRsForWavesPerEU: 33
; NumVGPRsForWavesPerEU: 24
; Occupancy: 10
; WaveLimiterHint : 0
; COMPUTE_PGM_RSRC2:SCRATCH_EN: 0
; COMPUTE_PGM_RSRC2:USER_SGPR: 6
; COMPUTE_PGM_RSRC2:TRAP_HANDLER: 0
; COMPUTE_PGM_RSRC2:TGID_X_EN: 1
; COMPUTE_PGM_RSRC2:TGID_Y_EN: 0
; COMPUTE_PGM_RSRC2:TGID_Z_EN: 0
; COMPUTE_PGM_RSRC2:TIDIG_COMP_CNT: 0
	.text
	.protected	TransformersAmpAdamWContiguous ; -- Begin function TransformersAmpAdamWContiguous
	.globl	TransformersAmpAdamWContiguous
	.p2align	8
	.type	TransformersAmpAdamWContiguous,@function
TransformersAmpAdamWContiguous:         ; @TransformersAmpAdamWContiguous
; %bb.0:
	s_load_dword s2, s[4:5], 0x7c
	s_load_dwordx2 s[34:35], s[4:5], 0x68
	s_add_u32 s0, s4, 0x70
	s_addc_u32 s1, s5, 0
	v_mov_b32_e32 v2, 0
	s_waitcnt lgkmcnt(0)
	s_and_b32 s33, s2, 0xffff
	s_mul_i32 s2, s6, s33
	v_add_u32_e32 v1, s2, v0
	v_cmp_gt_u64_e32 vcc, s[34:35], v[1:2]
	s_and_saveexec_b64 s[2:3], vcc
	s_cbranch_execz .LBB5_23
; %bb.1:
	s_load_dwordx4 s[28:31], s[4:5], 0x40
	s_load_dwordx16 s[12:27], s[4:5], 0x0
	s_load_dword s38, s[0:1], 0x0
	s_waitcnt lgkmcnt(0)
	s_cmp_eq_u64 s[30:31], 0
	s_cselect_b64 s[2:3], -1, 0
	s_and_b64 vcc, exec, s[2:3]
	s_cbranch_vccnz .LBB5_15
; %bb.2:
	v_mov_b32_e32 v4, 0
	global_load_ubyte v3, v4, s[30:31]
	s_waitcnt vmcnt(0)
	v_cmp_ne_u32_e32 vcc, 0, v3
	s_cbranch_vccz .LBB5_22
; %bb.3:
	s_cmp_lt_u32 s6, s38
	s_cselect_b32 s2, 12, 18
	s_add_u32 s0, s0, s2
	s_addc_u32 s1, s1, 0
	global_load_ushort v5, v4, s[0:1]
	s_waitcnt vmcnt(0)
	v_mul_lo_u32 v3, s6, v5
	v_add_u32_e32 v3, v3, v0
	v_cmp_gt_u64_e32 vcc, s[34:35], v[3:4]
	s_and_saveexec_b64 s[30:31], vcc
	s_cbranch_execz .LBB5_14
; %bb.4:
	v_lshlrev_b64 v[11:12], 1, v[3:4]
	s_cmp_lg_u64 s[12:13], s[14:15]
	v_mul_lo_u32 v5, s38, v5
	s_cselect_b64 s[0:1], -1, 0
	s_cmp_lg_u64 s[16:17], 0
	v_mov_b32_e32 v0, s17
	v_add_co_u32_e32 v11, vcc, s16, v11
	s_cselect_b64 s[2:3], -1, 0
	s_cmp_lg_u64 s[20:21], s[22:23]
	v_addc_co_u32_e32 v12, vcc, v0, v12, vcc
	v_cndmask_b32_e64 v0, 0, 1, s[0:1]
	s_cselect_b64 s[6:7], -1, 0
	s_cmp_lg_u64 s[24:25], s[26:27]
	v_cmp_ne_u32_e64 s[0:1], 1, v0
	v_cndmask_b32_e64 v0, 0, 1, s[2:3]
	v_mov_b32_e32 v6, 0
	v_cmp_ne_u32_e64 s[2:3], 1, v0
	v_cndmask_b32_e64 v0, 0, 1, s[6:7]
	s_cselect_b64 s[8:9], -1, 0
	v_lshlrev_b64 v[7:8], 2, v[3:4]
	v_lshlrev_b64 v[9:10], 2, v[5:6]
	;; [unrolled: 1-line block ×3, first 2 shown]
	v_cmp_ne_u32_e64 s[6:7], 1, v0
	v_cndmask_b32_e64 v0, 0, 1, s[8:9]
	s_mov_b64 s[36:37], 0
	v_cmp_ne_u32_e64 s[8:9], 1, v0
	s_branch .LBB5_6
.LBB5_5:                                ;   in Loop: Header=BB5_6 Depth=1
	v_add_co_u32_e32 v3, vcc, v3, v5
	v_addc_co_u32_e32 v4, vcc, 0, v4, vcc
	v_cmp_le_u64_e32 vcc, s[34:35], v[3:4]
	v_add_co_u32_e64 v7, s[10:11], v7, v9
	s_or_b64 s[36:37], vcc, s[36:37]
	v_add_co_u32_e32 v11, vcc, v11, v13
	v_addc_co_u32_e64 v8, s[10:11], v8, v10, s[10:11]
	v_addc_co_u32_e32 v12, vcc, v12, v14, vcc
	s_andn2_b64 exec, exec, s[36:37]
	s_cbranch_execz .LBB5_14
.LBB5_6:                                ; =>This Inner Loop Header: Depth=1
	s_and_b64 vcc, exec, s[0:1]
	s_cbranch_vccnz .LBB5_8
; %bb.7:                                ;   in Loop: Header=BB5_6 Depth=1
	v_mov_b32_e32 v0, s13
	v_add_co_u32_e32 v15, vcc, s12, v7
	v_addc_co_u32_e32 v16, vcc, v0, v8, vcc
	global_load_dword v0, v[15:16], off
	v_mov_b32_e32 v6, s15
	v_add_co_u32_e32 v15, vcc, s14, v7
	v_addc_co_u32_e32 v16, vcc, v6, v8, vcc
	s_waitcnt vmcnt(0)
	global_store_dword v[15:16], v0, off
.LBB5_8:                                ;   in Loop: Header=BB5_6 Depth=1
	s_and_b64 vcc, exec, s[2:3]
	s_cbranch_vccnz .LBB5_10
; %bb.9:                                ;   in Loop: Header=BB5_6 Depth=1
	v_mov_b32_e32 v0, s13
	v_add_co_u32_e32 v15, vcc, s12, v7
	v_addc_co_u32_e32 v16, vcc, v0, v8, vcc
	global_load_dword v0, v[15:16], off
	s_waitcnt vmcnt(0)
	v_cvt_f16_f32_e32 v0, v0
	global_store_short v[11:12], v0, off
.LBB5_10:                               ;   in Loop: Header=BB5_6 Depth=1
	s_and_b64 vcc, exec, s[6:7]
	s_cbranch_vccnz .LBB5_12
; %bb.11:                               ;   in Loop: Header=BB5_6 Depth=1
	v_mov_b32_e32 v0, s21
	v_add_co_u32_e32 v15, vcc, s20, v7
	v_addc_co_u32_e32 v16, vcc, v0, v8, vcc
	global_load_dword v0, v[15:16], off
	v_mov_b32_e32 v6, s23
	v_add_co_u32_e32 v15, vcc, s22, v7
	v_addc_co_u32_e32 v16, vcc, v6, v8, vcc
	s_waitcnt vmcnt(0)
	global_store_dword v[15:16], v0, off
.LBB5_12:                               ;   in Loop: Header=BB5_6 Depth=1
	s_and_b64 vcc, exec, s[8:9]
	s_cbranch_vccnz .LBB5_5
; %bb.13:                               ;   in Loop: Header=BB5_6 Depth=1
	v_mov_b32_e32 v0, s25
	v_add_co_u32_e32 v15, vcc, s24, v7
	v_addc_co_u32_e32 v16, vcc, v0, v8, vcc
	global_load_dword v0, v[15:16], off
	v_mov_b32_e32 v6, s27
	v_add_co_u32_e32 v15, vcc, s26, v7
	v_addc_co_u32_e32 v16, vcc, v6, v8, vcc
	s_waitcnt vmcnt(0)
	global_store_dword v[15:16], v0, off
	s_branch .LBB5_5
.LBB5_14:
	s_or_b64 exec, exec, s[30:31]
	s_mov_b64 s[2:3], 0
.LBB5_15:
	s_and_b64 vcc, exec, s[2:3]
	s_cbranch_vccz .LBB5_23
.LBB5_16:
	s_cmp_eq_u64 s[28:29], 0
	s_cselect_b64 s[0:1], -1, 0
	s_mov_b64 s[6:7], 0
	s_and_b64 vcc, exec, s[0:1]
	v_mov_b32_e32 v0, 1.0
	s_cbranch_vccnz .LBB5_18
; %bb.17:
	v_mov_b32_e32 v0, 0
	global_load_dword v0, v0, s[28:29]
	s_waitcnt vmcnt(0)
	v_cvt_f32_i32_e32 v0, v0
.LBB5_18:
	s_load_dwordx4 s[8:11], s[4:5], 0x50
	s_mul_i32 s28, s38, s33
	s_load_dword s33, s[4:5], 0x60
	v_lshlrev_b64 v[3:4], 1, v[1:2]
	s_cmp_lg_u64 s[16:17], 0
	s_cselect_b64 s[2:3], -1, 0
	v_mov_b32_e32 v5, s17
	v_add_co_u32_e32 v3, vcc, s16, v3
	s_mov_b32 s29, 0
	v_addc_co_u32_e32 v4, vcc, v5, v4, vcc
	v_lshlrev_b64 v[5:6], 2, v[1:2]
	v_cndmask_b32_e64 v7, 0, 1, s[2:3]
	s_waitcnt lgkmcnt(0)
	v_sub_f32_e64 v9, 1.0, s8
	v_sub_f32_e64 v10, 1.0, s9
	s_lshl_b64 s[16:17], s[28:29], 1
	s_lshl_b64 s[30:31], s[28:29], 2
	v_mov_b32_e32 v11, s19
	v_mov_b32_e32 v12, s13
	;; [unrolled: 1-line block ×4, first 2 shown]
	s_mov_b32 s13, 0xf800000
	v_mov_b32_e32 v15, 0x260
	v_mov_b32_e32 v16, s15
	;; [unrolled: 1-line block ×4, first 2 shown]
	v_cmp_ne_u32_e64 s[2:3], 1, v7
	s_branch .LBB5_20
.LBB5_19:                               ;   in Loop: Header=BB5_20 Depth=1
	v_add_co_u32_e32 v1, vcc, s28, v1
	v_addc_co_u32_e32 v2, vcc, 0, v2, vcc
	v_mov_b32_e32 v7, s17
	v_add_co_u32_e32 v3, vcc, s16, v3
	v_addc_co_u32_e32 v4, vcc, v4, v7, vcc
	v_cmp_le_u64_e32 vcc, s[34:35], v[1:2]
	v_mov_b32_e32 v7, s31
	s_or_b64 s[6:7], vcc, s[6:7]
	v_add_co_u32_e32 v5, vcc, s30, v5
	v_addc_co_u32_e32 v6, vcc, v6, v7, vcc
	s_andn2_b64 exec, exec, s[6:7]
	s_cbranch_execz .LBB5_23
.LBB5_20:                               ; =>This Inner Loop Header: Depth=1
	v_add_co_u32_e32 v7, vcc, s18, v5
	v_addc_co_u32_e32 v8, vcc, v11, v6, vcc
	global_load_dword v7, v[7:8], off
	v_add_co_u32_e32 v19, vcc, s24, v5
	v_addc_co_u32_e32 v20, vcc, v14, v6, vcc
	global_load_dword v8, v[19:20], off
	;; [unrolled: 3-line block ×3, first 2 shown]
	s_waitcnt vmcnt(2)
	v_div_scale_f32 v19, s[4:5], v0, v0, v7
	v_div_scale_f32 v20, vcc, v7, v0, v7
	s_waitcnt vmcnt(0)
	v_mul_f32_e32 v25, s8, v21
	v_rcp_f32_e32 v22, v19
	v_fma_f32 v23, -v19, v22, 1.0
	v_fmac_f32_e32 v22, v23, v22
	v_mul_f32_e32 v23, v20, v22
	v_fma_f32 v24, -v19, v23, v20
	v_fmac_f32_e32 v23, v24, v22
	v_fma_f32 v19, -v19, v23, v20
	v_div_fmas_f32 v22, v19, v22, v23
	v_add_co_u32_e32 v19, vcc, s12, v5
	v_addc_co_u32_e32 v20, vcc, v12, v6, vcc
	global_load_dword v23, v[19:20], off
	v_mul_f32_e32 v24, s9, v8
	v_div_fixup_f32 v8, v22, v0, v7
	v_cndmask_b32_e64 v7, v8, v7, s[0:1]
	v_mul_f32_e32 v8, v7, v7
	v_fmac_f32_e32 v24, v10, v8
	v_mul_f32_e32 v8, 0x4f800000, v24
	v_cmp_gt_f32_e32 vcc, s13, v24
	v_cndmask_b32_e32 v8, v24, v8, vcc
	v_sqrt_f32_e32 v19, v8
	v_fmac_f32_e32 v25, v9, v7
	v_mul_f32_e32 v21, s33, v25
	v_add_u32_e32 v7, -1, v19
	v_add_u32_e32 v20, 1, v19
	v_fma_f32 v22, -v7, v19, v8
	v_fma_f32 v26, -v20, v19, v8
	v_cmp_ge_f32_e64 s[4:5], 0, v22
	v_cndmask_b32_e64 v7, v19, v7, s[4:5]
	v_cmp_lt_f32_e64 s[4:5], 0, v26
	v_cndmask_b32_e64 v7, v7, v20, s[4:5]
	v_mul_f32_e32 v19, 0x37800000, v7
	v_cndmask_b32_e32 v7, v7, v19, vcc
	v_cmp_class_f32_e32 vcc, v8, v15
	v_cndmask_b32_e32 v7, v7, v8, vcc
	v_add_f32_e32 v22, s10, v7
	v_div_scale_f32 v7, s[4:5], v22, v22, v21
	v_div_scale_f32 v8, vcc, v21, v22, v21
	v_rcp_f32_e32 v19, v7
	v_fma_f32 v20, -v7, v19, 1.0
	v_fmac_f32_e32 v19, v20, v19
	v_mul_f32_e32 v20, v8, v19
	v_fma_f32 v26, -v7, v20, v8
	v_fmac_f32_e32 v20, v26, v19
	v_fma_f32 v7, -v7, v20, v8
	v_div_fmas_f32 v26, v7, v19, v20
	v_add_co_u32_e32 v7, vcc, s14, v5
	v_addc_co_u32_e32 v8, vcc, v16, v6, vcc
	v_add_co_u32_e32 v19, vcc, s22, v5
	v_addc_co_u32_e32 v20, vcc, v17, v6, vcc
	v_div_fixup_f32 v26, v26, v22, v21
	v_add_co_u32_e32 v21, vcc, s26, v5
	v_addc_co_u32_e32 v22, vcc, v18, v6, vcc
	s_waitcnt vmcnt(0)
	v_sub_f32_e32 v23, v23, v26
	s_and_b64 vcc, exec, s[2:3]
	v_fma_f32 v23, -s11, v23, v23
	global_store_dword v[7:8], v23, off
	global_store_dword v[19:20], v25, off
	;; [unrolled: 1-line block ×3, first 2 shown]
	s_cbranch_vccnz .LBB5_19
; %bb.21:                               ;   in Loop: Header=BB5_20 Depth=1
	global_load_dword v7, v[7:8], off
	s_waitcnt vmcnt(0)
	v_cvt_f16_f32_e32 v7, v7
	global_store_short v[3:4], v7, off
	s_branch .LBB5_19
.LBB5_22:
	s_cbranch_execnz .LBB5_16
.LBB5_23:
	s_endpgm
	.section	.rodata,"a",@progbits
	.p2align	6, 0x0
	.amdhsa_kernel TransformersAmpAdamWContiguous
		.amdhsa_group_segment_fixed_size 0
		.amdhsa_private_segment_fixed_size 0
		.amdhsa_kernarg_size 368
		.amdhsa_user_sgpr_count 6
		.amdhsa_user_sgpr_private_segment_buffer 1
		.amdhsa_user_sgpr_dispatch_ptr 0
		.amdhsa_user_sgpr_queue_ptr 0
		.amdhsa_user_sgpr_kernarg_segment_ptr 1
		.amdhsa_user_sgpr_dispatch_id 0
		.amdhsa_user_sgpr_flat_scratch_init 0
		.amdhsa_user_sgpr_private_segment_size 0
		.amdhsa_uses_dynamic_stack 0
		.amdhsa_system_sgpr_private_segment_wavefront_offset 0
		.amdhsa_system_sgpr_workgroup_id_x 1
		.amdhsa_system_sgpr_workgroup_id_y 0
		.amdhsa_system_sgpr_workgroup_id_z 0
		.amdhsa_system_sgpr_workgroup_info 0
		.amdhsa_system_vgpr_workitem_id 0
		.amdhsa_next_free_vgpr 27
		.amdhsa_next_free_sgpr 39
		.amdhsa_reserve_vcc 1
		.amdhsa_reserve_flat_scratch 0
		.amdhsa_float_round_mode_32 0
		.amdhsa_float_round_mode_16_64 0
		.amdhsa_float_denorm_mode_32 3
		.amdhsa_float_denorm_mode_16_64 3
		.amdhsa_dx10_clamp 1
		.amdhsa_ieee_mode 1
		.amdhsa_fp16_overflow 0
		.amdhsa_exception_fp_ieee_invalid_op 0
		.amdhsa_exception_fp_denorm_src 0
		.amdhsa_exception_fp_ieee_div_zero 0
		.amdhsa_exception_fp_ieee_overflow 0
		.amdhsa_exception_fp_ieee_underflow 0
		.amdhsa_exception_fp_ieee_inexact 0
		.amdhsa_exception_int_div_zero 0
	.end_amdhsa_kernel
	.text
.Lfunc_end5:
	.size	TransformersAmpAdamWContiguous, .Lfunc_end5-TransformersAmpAdamWContiguous
                                        ; -- End function
	.set TransformersAmpAdamWContiguous.num_vgpr, 27
	.set TransformersAmpAdamWContiguous.num_agpr, 0
	.set TransformersAmpAdamWContiguous.numbered_sgpr, 39
	.set TransformersAmpAdamWContiguous.num_named_barrier, 0
	.set TransformersAmpAdamWContiguous.private_seg_size, 0
	.set TransformersAmpAdamWContiguous.uses_vcc, 1
	.set TransformersAmpAdamWContiguous.uses_flat_scratch, 0
	.set TransformersAmpAdamWContiguous.has_dyn_sized_stack, 0
	.set TransformersAmpAdamWContiguous.has_recursion, 0
	.set TransformersAmpAdamWContiguous.has_indirect_call, 0
	.section	.AMDGPU.csdata,"",@progbits
; Kernel info:
; codeLenInByte = 1312
; TotalNumSgprs: 43
; NumVgprs: 27
; ScratchSize: 0
; MemoryBound: 0
; FloatMode: 240
; IeeeMode: 1
; LDSByteSize: 0 bytes/workgroup (compile time only)
; SGPRBlocks: 5
; VGPRBlocks: 6
; NumSGPRsForWavesPerEU: 43
; NumVGPRsForWavesPerEU: 27
; Occupancy: 9
; WaveLimiterHint : 0
; COMPUTE_PGM_RSRC2:SCRATCH_EN: 0
; COMPUTE_PGM_RSRC2:USER_SGPR: 6
; COMPUTE_PGM_RSRC2:TRAP_HANDLER: 0
; COMPUTE_PGM_RSRC2:TGID_X_EN: 1
; COMPUTE_PGM_RSRC2:TGID_Y_EN: 0
; COMPUTE_PGM_RSRC2:TGID_Z_EN: 0
; COMPUTE_PGM_RSRC2:TIDIG_COMP_CNT: 0
	.text
	.protected	TransformersAmpAdamWContiguousWithStep ; -- Begin function TransformersAmpAdamWContiguousWithStep
	.globl	TransformersAmpAdamWContiguousWithStep
	.p2align	8
	.type	TransformersAmpAdamWContiguousWithStep,@function
TransformersAmpAdamWContiguousWithStep: ; @TransformersAmpAdamWContiguousWithStep
; %bb.0:
	s_load_dword s2, s[4:5], 0x8c
	s_load_dwordx2 s[34:35], s[4:5], 0x78
	s_add_u32 s0, s4, 0x80
	s_addc_u32 s1, s5, 0
	v_mov_b32_e32 v2, 0
	s_waitcnt lgkmcnt(0)
	s_and_b32 s33, s2, 0xffff
	s_mul_i32 s2, s6, s33
	v_add_u32_e32 v1, s2, v0
	v_cmp_gt_u64_e32 vcc, s[34:35], v[1:2]
	s_and_saveexec_b64 s[2:3], vcc
	s_cbranch_execz .LBB6_26
; %bb.1:
	s_load_dwordx4 s[28:31], s[4:5], 0x40
	s_load_dwordx16 s[12:27], s[4:5], 0x0
	s_load_dword s72, s[0:1], 0x0
	s_waitcnt lgkmcnt(0)
	s_cmp_eq_u64 s[30:31], 0
	s_cselect_b64 s[2:3], -1, 0
	s_and_b64 vcc, exec, s[2:3]
	s_cbranch_vccnz .LBB6_15
; %bb.2:
	v_mov_b32_e32 v4, 0
	global_load_ubyte v3, v4, s[30:31]
	s_waitcnt vmcnt(0)
	v_cmp_ne_u32_e32 vcc, 0, v3
	s_cbranch_vccz .LBB6_25
; %bb.3:
	s_cmp_lt_u32 s6, s72
	s_cselect_b32 s2, 12, 18
	s_add_u32 s0, s0, s2
	s_addc_u32 s1, s1, 0
	global_load_ushort v5, v4, s[0:1]
	s_waitcnt vmcnt(0)
	v_mul_lo_u32 v3, s6, v5
	v_add_u32_e32 v3, v3, v0
	v_cmp_gt_u64_e32 vcc, s[34:35], v[3:4]
	s_and_saveexec_b64 s[30:31], vcc
	s_cbranch_execz .LBB6_14
; %bb.4:
	v_lshlrev_b64 v[11:12], 1, v[3:4]
	s_cmp_lg_u64 s[12:13], s[14:15]
	v_mul_lo_u32 v5, s72, v5
	s_cselect_b64 s[0:1], -1, 0
	s_cmp_lg_u64 s[16:17], 0
	v_mov_b32_e32 v0, s17
	v_add_co_u32_e32 v11, vcc, s16, v11
	s_cselect_b64 s[2:3], -1, 0
	s_cmp_lg_u64 s[20:21], s[22:23]
	v_addc_co_u32_e32 v12, vcc, v0, v12, vcc
	v_cndmask_b32_e64 v0, 0, 1, s[0:1]
	s_cselect_b64 s[6:7], -1, 0
	s_cmp_lg_u64 s[24:25], s[26:27]
	v_cmp_ne_u32_e64 s[0:1], 1, v0
	v_cndmask_b32_e64 v0, 0, 1, s[2:3]
	v_mov_b32_e32 v6, 0
	v_cmp_ne_u32_e64 s[2:3], 1, v0
	v_cndmask_b32_e64 v0, 0, 1, s[6:7]
	s_cselect_b64 s[8:9], -1, 0
	v_lshlrev_b64 v[7:8], 2, v[3:4]
	v_lshlrev_b64 v[9:10], 2, v[5:6]
	;; [unrolled: 1-line block ×3, first 2 shown]
	v_cmp_ne_u32_e64 s[6:7], 1, v0
	v_cndmask_b32_e64 v0, 0, 1, s[8:9]
	s_mov_b64 s[36:37], 0
	v_cmp_ne_u32_e64 s[8:9], 1, v0
	s_branch .LBB6_6
.LBB6_5:                                ;   in Loop: Header=BB6_6 Depth=1
	v_add_co_u32_e32 v3, vcc, v3, v5
	v_addc_co_u32_e32 v4, vcc, 0, v4, vcc
	v_cmp_le_u64_e32 vcc, s[34:35], v[3:4]
	v_add_co_u32_e64 v7, s[10:11], v7, v9
	s_or_b64 s[36:37], vcc, s[36:37]
	v_add_co_u32_e32 v11, vcc, v11, v13
	v_addc_co_u32_e64 v8, s[10:11], v8, v10, s[10:11]
	v_addc_co_u32_e32 v12, vcc, v12, v14, vcc
	s_andn2_b64 exec, exec, s[36:37]
	s_cbranch_execz .LBB6_14
.LBB6_6:                                ; =>This Inner Loop Header: Depth=1
	s_and_b64 vcc, exec, s[0:1]
	s_cbranch_vccnz .LBB6_8
; %bb.7:                                ;   in Loop: Header=BB6_6 Depth=1
	v_mov_b32_e32 v0, s13
	v_add_co_u32_e32 v15, vcc, s12, v7
	v_addc_co_u32_e32 v16, vcc, v0, v8, vcc
	global_load_dword v0, v[15:16], off
	v_mov_b32_e32 v6, s15
	v_add_co_u32_e32 v15, vcc, s14, v7
	v_addc_co_u32_e32 v16, vcc, v6, v8, vcc
	s_waitcnt vmcnt(0)
	global_store_dword v[15:16], v0, off
.LBB6_8:                                ;   in Loop: Header=BB6_6 Depth=1
	s_and_b64 vcc, exec, s[2:3]
	s_cbranch_vccnz .LBB6_10
; %bb.9:                                ;   in Loop: Header=BB6_6 Depth=1
	v_mov_b32_e32 v0, s13
	v_add_co_u32_e32 v15, vcc, s12, v7
	v_addc_co_u32_e32 v16, vcc, v0, v8, vcc
	global_load_dword v0, v[15:16], off
	s_waitcnt vmcnt(0)
	v_cvt_f16_f32_e32 v0, v0
	global_store_short v[11:12], v0, off
.LBB6_10:                               ;   in Loop: Header=BB6_6 Depth=1
	s_and_b64 vcc, exec, s[6:7]
	s_cbranch_vccnz .LBB6_12
; %bb.11:                               ;   in Loop: Header=BB6_6 Depth=1
	v_mov_b32_e32 v0, s21
	v_add_co_u32_e32 v15, vcc, s20, v7
	v_addc_co_u32_e32 v16, vcc, v0, v8, vcc
	global_load_dword v0, v[15:16], off
	v_mov_b32_e32 v6, s23
	v_add_co_u32_e32 v15, vcc, s22, v7
	v_addc_co_u32_e32 v16, vcc, v6, v8, vcc
	s_waitcnt vmcnt(0)
	global_store_dword v[15:16], v0, off
.LBB6_12:                               ;   in Loop: Header=BB6_6 Depth=1
	s_and_b64 vcc, exec, s[8:9]
	s_cbranch_vccnz .LBB6_5
; %bb.13:                               ;   in Loop: Header=BB6_6 Depth=1
	v_mov_b32_e32 v0, s25
	v_add_co_u32_e32 v15, vcc, s24, v7
	v_addc_co_u32_e32 v16, vcc, v0, v8, vcc
	global_load_dword v0, v[15:16], off
	v_mov_b32_e32 v6, s27
	v_add_co_u32_e32 v15, vcc, s26, v7
	v_addc_co_u32_e32 v16, vcc, v6, v8, vcc
	s_waitcnt vmcnt(0)
	global_store_dword v[15:16], v0, off
	s_branch .LBB6_5
.LBB6_14:
	s_or_b64 exec, exec, s[30:31]
	s_mov_b64 s[2:3], 0
.LBB6_15:
	s_and_b64 vcc, exec, s[2:3]
	s_cbranch_vccz .LBB6_26
.LBB6_16:
	s_load_dwordx2 s[6:7], s[4:5], 0x50
	s_cmp_eq_u64 s[28:29], 0
	s_cselect_b64 s[0:1], -1, 0
	s_and_b64 vcc, exec, s[0:1]
	v_mov_b32_e32 v0, 1.0
	s_cbranch_vccnz .LBB6_18
; %bb.17:
	v_mov_b32_e32 v0, 0
	global_load_dword v0, v0, s[28:29]
	s_waitcnt vmcnt(0)
	v_cvt_f32_i32_e32 v0, v0
.LBB6_18:
	s_load_dwordx8 s[36:43], s[4:5], 0x58
	s_mov_b32 s11, 0
	s_waitcnt lgkmcnt(0)
	s_bitcmp1_b32 s42, 0
	v_cmp_lt_f32_e64 s[2:3], s41, 0
	s_cselect_b64 s[4:5], -1, 0
	s_and_b64 s[4:5], s[2:3], s[4:5]
	s_andn2_b64 vcc, exec, s[4:5]
	s_cbranch_vccnz .LBB6_20
; %bb.19:
	v_mov_b32_e32 v3, 0
	global_load_dword v3, v3, s[6:7]
	v_mov_b32_e32 v29, 0x3ff00000
	v_cmp_neq_f32_e64 vcc, s37, 1.0
	s_mov_b32 s6, 0x55555555
	s_mov_b32 s7, 0x3fe55555
	;; [unrolled: 1-line block ×28, first 2 shown]
	s_movk_i32 s10, 0x204
	s_mov_b32 s56, 0x1852b7b0
	s_mov_b32 s57, 0x3f56c16c
	;; [unrolled: 1-line block ×12, first 2 shown]
	s_waitcnt vmcnt(0)
	v_add_u32_e32 v3, 1, v3
	v_cvt_f64_u32_e32 v[5:6], v3
	v_cvt_f64_f32_e32 v[3:4], s37
	v_cndmask_b32_e32 v10, v29, v6, vcc
	v_cndmask_b32_e32 v9, 0, v5, vcc
	v_cmp_neq_f64_e32 vcc, 0, v[9:10]
	v_cndmask_b32_e32 v4, v29, v4, vcc
	v_cndmask_b32_e32 v3, 0, v3, vcc
	v_frexp_mant_f64_e64 v[7:8], |v[3:4]|
	v_cmp_gt_f64_e64 s[2:3], s[6:7], v[7:8]
	v_cndmask_b32_e64 v11, 0, 1, s[2:3]
	v_ldexp_f64 v[7:8], v[7:8], v11
	v_add_f64 v[11:12], v[7:8], 1.0
	v_add_f64 v[17:18], v[7:8], -1.0
	v_rcp_f64_e32 v[13:14], v[11:12]
	v_fma_f64 v[15:16], -v[11:12], v[13:14], 1.0
	v_fma_f64 v[13:14], v[15:16], v[13:14], v[13:14]
	v_fma_f64 v[15:16], -v[11:12], v[13:14], 1.0
	v_fma_f64 v[13:14], v[15:16], v[13:14], v[13:14]
	v_add_f64 v[15:16], v[11:12], -1.0
	v_mul_f64 v[19:20], v[17:18], v[13:14]
	v_add_f64 v[7:8], v[7:8], -v[15:16]
	v_mul_f64 v[15:16], v[11:12], v[19:20]
	v_fma_f64 v[11:12], v[19:20], v[11:12], -v[15:16]
	v_fma_f64 v[7:8], v[19:20], v[7:8], v[11:12]
	v_add_f64 v[11:12], v[15:16], v[7:8]
	v_add_f64 v[15:16], v[11:12], -v[15:16]
	v_add_f64 v[7:8], v[15:16], -v[7:8]
	;; [unrolled: 1-line block ×5, first 2 shown]
	v_add_f64 v[7:8], v[7:8], v[11:12]
	v_add_f64 v[7:8], v[15:16], v[7:8]
	v_mul_f64 v[7:8], v[13:14], v[7:8]
	v_add_f64 v[13:14], v[19:20], v[7:8]
	v_add_f64 v[11:12], v[13:14], -v[19:20]
	v_mul_f64 v[15:16], v[13:14], v[13:14]
	v_mul_f64 v[19:20], v[9:10], 0.5
	v_add_f64 v[11:12], v[7:8], -v[11:12]
	v_fma_f64 v[7:8], v[13:14], v[13:14], -v[15:16]
	v_add_f64 v[17:18], v[11:12], v[11:12]
	v_fma_f64 v[7:8], v[13:14], v[17:18], v[7:8]
	v_trunc_f64_e32 v[17:18], v[19:20]
	v_cmp_neq_f64_e32 vcc, v[17:18], v[19:20]
	v_add_f64 v[17:18], v[15:16], v[7:8]
	v_add_f64 v[19:20], v[17:18], -v[15:16]
	v_mov_b32_e32 v16, s5
	v_mov_b32_e32 v15, s4
	v_cmp_neq_f32_e64 s[4:5], s38, 1.0
	v_cndmask_b32_e64 v6, v29, v6, s[4:5]
	v_cndmask_b32_e64 v5, 0, v5, s[4:5]
	v_cmp_neq_f64_e64 s[4:5], 0, v[5:6]
	v_add_f64 v[7:8], v[7:8], -v[19:20]
	v_fma_f64 v[19:20], v[17:18], s[8:9], v[15:16]
	v_fma_f64 v[19:20], v[17:18], v[19:20], s[28:29]
	;; [unrolled: 1-line block ×8, first 2 shown]
	v_mul_f64 v[21:22], v[17:18], v[19:20]
	v_fma_f64 v[23:24], v[17:18], v[19:20], -v[21:22]
	v_fma_f64 v[19:20], v[7:8], v[19:20], v[23:24]
	v_mul_f64 v[23:24], v[13:14], v[17:18]
	v_fma_f64 v[25:26], v[17:18], v[13:14], -v[23:24]
	v_fma_f64 v[17:18], v[17:18], v[11:12], v[25:26]
	v_add_f64 v[25:26], v[21:22], v[19:20]
	v_ldexp_f64 v[11:12], v[11:12], 1
	v_fma_f64 v[7:8], v[7:8], v[13:14], v[17:18]
	v_add_f64 v[21:22], v[25:26], -v[21:22]
	v_ldexp_f64 v[13:14], v[13:14], 1
	v_add_f64 v[19:20], v[19:20], -v[21:22]
	v_add_f64 v[21:22], v[25:26], s[6:7]
	v_add_f64 v[19:20], v[19:20], s[44:45]
	v_add_f64 v[27:28], v[21:22], s[30:31]
	v_add_f64 v[25:26], v[25:26], -v[27:28]
	v_add_f64 v[19:20], v[19:20], v[25:26]
	v_add_f64 v[25:26], v[21:22], v[19:20]
	v_add_f64 v[17:18], v[21:22], -v[25:26]
	v_add_f64 v[21:22], v[23:24], v[7:8]
	v_add_f64 v[19:20], v[19:20], v[17:18]
	v_mul_f64 v[17:18], v[21:22], v[25:26]
	v_fma_f64 v[27:28], v[21:22], v[25:26], -v[17:18]
	v_fma_f64 v[19:20], v[21:22], v[19:20], v[27:28]
	v_add_f64 v[21:22], v[21:22], -v[23:24]
	v_add_f64 v[7:8], v[7:8], -v[21:22]
	v_fma_f64 v[19:20], v[7:8], v[25:26], v[19:20]
	v_cvt_f64_f32_e32 v[7:8], s38
	v_cndmask_b32_e64 v8, v29, v8, s[4:5]
	v_cndmask_b32_e64 v7, 0, v7, s[4:5]
	v_frexp_mant_f64_e64 v[21:22], |v[7:8]|
	v_cmp_gt_f64_e64 s[4:5], s[6:7], v[21:22]
	v_cndmask_b32_e64 v23, 0, 1, s[4:5]
	v_ldexp_f64 v[21:22], v[21:22], v23
	v_add_f64 v[23:24], v[21:22], 1.0
	v_rcp_f64_e32 v[25:26], v[23:24]
	v_fma_f64 v[27:28], -v[23:24], v[25:26], 1.0
	v_fma_f64 v[25:26], v[27:28], v[25:26], v[25:26]
	v_fma_f64 v[27:28], -v[23:24], v[25:26], 1.0
	v_fma_f64 v[25:26], v[27:28], v[25:26], v[25:26]
	v_add_f64 v[27:28], v[23:24], -1.0
	v_add_f64 v[27:28], v[21:22], -v[27:28]
	v_add_f64 v[21:22], v[21:22], -1.0
	v_mul_f64 v[30:31], v[21:22], v[25:26]
	v_mul_f64 v[32:33], v[23:24], v[30:31]
	v_fma_f64 v[23:24], v[30:31], v[23:24], -v[32:33]
	v_fma_f64 v[23:24], v[30:31], v[27:28], v[23:24]
	v_add_f64 v[27:28], v[32:33], v[23:24]
	v_add_f64 v[32:33], v[27:28], -v[32:33]
	v_add_f64 v[23:24], v[32:33], -v[23:24]
	;; [unrolled: 1-line block ×5, first 2 shown]
	v_add_f64 v[21:22], v[23:24], v[21:22]
	v_add_f64 v[21:22], v[32:33], v[21:22]
	v_mul_f64 v[23:24], v[25:26], v[21:22]
	v_add_f64 v[21:22], v[30:31], v[23:24]
	v_add_f64 v[25:26], v[21:22], -v[30:31]
	v_add_f64 v[23:24], v[23:24], -v[25:26]
	v_mul_f64 v[25:26], v[21:22], v[21:22]
	v_add_f64 v[30:31], v[23:24], v[23:24]
	v_fma_f64 v[27:28], v[21:22], v[21:22], -v[25:26]
	v_fma_f64 v[27:28], v[21:22], v[30:31], v[27:28]
	v_add_f64 v[30:31], v[25:26], v[27:28]
	v_fma_f64 v[15:16], v[30:31], s[8:9], v[15:16]
	v_add_f64 v[25:26], v[30:31], -v[25:26]
	v_fma_f64 v[15:16], v[30:31], v[15:16], s[28:29]
	v_add_f64 v[25:26], v[27:28], -v[25:26]
	s_mov_b32 s28, 0x652b82fe
	s_mov_b32 s29, 0x3ff71547
	v_fma_f64 v[15:16], v[30:31], v[15:16], s[42:43]
	s_mov_b32 s43, 0xbc7abc9e
	s_mov_b32 s42, s68
	v_fma_f64 v[15:16], v[30:31], v[15:16], s[46:47]
	;; [unrolled: 3-line block ×6, first 2 shown]
	s_mov_b32 s54, 0x14761f6e
	s_mov_b32 s55, 0x3f2a01a0
	v_mul_f64 v[27:28], v[30:31], v[15:16]
	v_fma_f64 v[32:33], v[30:31], v[15:16], -v[27:28]
	v_fma_f64 v[15:16], v[25:26], v[15:16], v[32:33]
	v_mul_f64 v[32:33], v[21:22], v[30:31]
	v_fma_f64 v[34:35], v[30:31], v[21:22], -v[32:33]
	v_fma_f64 v[30:31], v[30:31], v[23:24], v[34:35]
	v_add_f64 v[34:35], v[27:28], v[15:16]
	v_fma_f64 v[30:31], v[25:26], v[21:22], v[30:31]
	v_add_f64 v[27:28], v[34:35], -v[27:28]
	v_ldexp_f64 v[21:22], v[21:22], 1
	v_add_f64 v[15:16], v[15:16], -v[27:28]
	v_add_f64 v[27:28], v[34:35], s[6:7]
	v_add_f64 v[15:16], v[15:16], s[44:45]
	;; [unrolled: 1-line block ×3, first 2 shown]
	s_mov_b32 s31, 0xbfe62e42
	s_mov_b32 s30, s70
	;; [unrolled: 1-line block ×4, first 2 shown]
	v_add_f64 v[34:35], v[34:35], -v[36:37]
	v_add_f64 v[15:16], v[15:16], v[34:35]
	v_add_f64 v[34:35], v[27:28], v[15:16]
	v_add_f64 v[25:26], v[27:28], -v[34:35]
	v_add_f64 v[27:28], v[32:33], v[30:31]
	v_add_f64 v[15:16], v[15:16], v[25:26]
	v_mul_f64 v[25:26], v[27:28], v[34:35]
	v_fma_f64 v[36:37], v[27:28], v[34:35], -v[25:26]
	v_fma_f64 v[15:16], v[27:28], v[15:16], v[36:37]
	v_add_f64 v[27:28], v[27:28], -v[32:33]
	v_add_f64 v[27:28], v[30:31], -v[27:28]
	v_fma_f64 v[27:28], v[27:28], v[34:35], v[15:16]
	v_add_f64 v[15:16], v[17:18], v[19:20]
	v_add_f64 v[17:18], v[15:16], -v[17:18]
	v_add_f64 v[17:18], v[19:20], -v[17:18]
	v_add_f64 v[19:20], v[13:14], v[15:16]
	v_add_f64 v[11:12], v[11:12], v[17:18]
	v_add_f64 v[13:14], v[19:20], -v[13:14]
	v_add_f64 v[13:14], v[15:16], -v[13:14]
	v_frexp_exp_i32_f64_e32 v15, v[3:4]
	v_add_f64 v[11:12], v[11:12], v[13:14]
	v_subbrev_co_u32_e64 v15, s[2:3], 0, v15, s[2:3]
	v_cvt_f64_i32_e32 v[15:16], v15
	v_mul_f64 v[17:18], v[15:16], s[70:71]
	v_fma_f64 v[30:31], v[15:16], s[70:71], -v[17:18]
	v_fma_f64 v[15:16], v[15:16], s[68:69], v[30:31]
	v_add_f64 v[13:14], v[17:18], v[15:16]
	v_add_f64 v[17:18], v[13:14], -v[17:18]
	v_add_f64 v[15:16], v[15:16], -v[17:18]
	v_add_f64 v[17:18], v[19:20], v[11:12]
	v_add_f64 v[30:31], v[13:14], v[17:18]
	v_add_f64 v[19:20], v[17:18], -v[19:20]
	v_add_f64 v[32:33], v[30:31], -v[13:14]
	;; [unrolled: 1-line block ×6, first 2 shown]
	v_add_f64 v[13:14], v[17:18], v[13:14]
	v_add_f64 v[17:18], v[15:16], v[11:12]
	v_add_f64 v[19:20], v[17:18], -v[15:16]
	v_add_f64 v[13:14], v[17:18], v[13:14]
	v_add_f64 v[11:12], v[11:12], -v[19:20]
	v_add_f64 v[19:20], v[17:18], -v[19:20]
	;; [unrolled: 1-line block ×3, first 2 shown]
	v_add_f64 v[11:12], v[11:12], v[15:16]
	v_add_f64 v[15:16], v[30:31], v[13:14]
	v_add_f64 v[17:18], v[15:16], -v[30:31]
	v_add_f64 v[13:14], v[13:14], -v[17:18]
	v_add_f64 v[11:12], v[11:12], v[13:14]
	v_add_f64 v[13:14], v[15:16], v[11:12]
	v_add_f64 v[15:16], v[13:14], -v[15:16]
	v_add_f64 v[11:12], v[11:12], -v[15:16]
	v_mul_f64 v[15:16], v[9:10], v[13:14]
	v_fma_f64 v[13:14], v[9:10], v[13:14], -v[15:16]
	v_cmp_class_f64_e64 s[2:3], v[15:16], s10
	v_fma_f64 v[11:12], v[9:10], v[11:12], v[13:14]
	v_add_f64 v[13:14], v[15:16], v[11:12]
	v_cndmask_b32_e64 v18, v14, v16, s[2:3]
	v_cndmask_b32_e64 v17, v13, v15, s[2:3]
	v_add_f64 v[13:14], v[13:14], -v[15:16]
	v_mul_f64 v[15:16], v[17:18], s[28:29]
	s_mov_b32 s2, 0xfca7ab0c
	s_mov_b32 s3, 0x3e928af3
	v_cmp_nlt_f64_e64 s[6:7], s[50:51], v[17:18]
	v_cmp_ngt_f64_e64 s[8:9], s[48:49], v[17:18]
	v_add_f64 v[11:12], v[11:12], -v[13:14]
	v_rndne_f64_e32 v[19:20], v[15:16]
	v_fma_f64 v[15:16], v[19:20], s[30:31], v[17:18]
	v_cvt_i32_f64_e32 v13, v[19:20]
	v_fma_f64 v[30:31], v[19:20], s[42:43], v[15:16]
	v_mov_b32_e32 v16, s3
	v_mov_b32_e32 v15, s2
	v_cmp_neq_f64_e64 s[2:3], |v[17:18]|, s[66:67]
	v_fma_f64 v[32:33], v[30:31], s[44:45], v[15:16]
	v_cndmask_b32_e64 v18, 0, v12, s[2:3]
	v_cndmask_b32_e64 v17, 0, v11, s[2:3]
	s_and_b64 s[2:3], s[8:9], s[6:7]
	v_fma_f64 v[32:33], v[30:31], v[32:33], s[46:47]
	v_fma_f64 v[32:33], v[30:31], v[32:33], s[52:53]
	;; [unrolled: 1-line block ×8, first 2 shown]
	v_fma_f64 v[32:33], v[30:31], v[32:33], 1.0
	v_fma_f64 v[30:31], v[30:31], v[32:33], 1.0
	v_ldexp_f64 v[13:14], v[30:31], v13
	v_mov_b32_e32 v30, 0x7ff00000
	v_cndmask_b32_e64 v14, v30, v14, s[6:7]
	v_cndmask_b32_e64 v12, 0, v14, s[8:9]
	;; [unrolled: 1-line block ×3, first 2 shown]
	v_fma_f64 v[13:14], v[11:12], v[17:18], v[11:12]
	v_trunc_f64_e32 v[17:18], v[9:10]
	v_cmp_class_f64_e64 s[6:7], v[11:12], s10
	v_cmp_eq_f64_e64 s[2:3], v[17:18], v[9:10]
	v_add_f64 v[17:18], v[25:26], v[27:28]
	v_cndmask_b32_e64 v11, v13, v11, s[6:7]
	v_frexp_exp_i32_f64_e32 v13, v[7:8]
	v_cndmask_b32_e64 v12, v14, v12, s[6:7]
	v_cmp_eq_f64_e64 s[6:7], 0, v[3:4]
	s_and_b64 vcc, s[2:3], vcc
	v_add_f64 v[9:10], v[17:18], -v[25:26]
	v_cndmask_b32_e64 v14, 0, v11, s[2:3]
	v_subbrev_co_u32_e64 v13, s[4:5], 0, v13, s[4:5]
	v_add_f64 v[19:20], v[27:28], -v[9:10]
	v_add_f64 v[9:10], v[21:22], v[17:18]
	v_add_f64 v[21:22], v[9:10], -v[21:22]
	v_add_f64 v[17:18], v[17:18], -v[21:22]
	v_ldexp_f64 v[21:22], v[23:24], 1
	v_add_f64 v[19:20], v[21:22], v[19:20]
	v_cvt_f64_i32_e32 v[21:22], v13
	v_mul_f64 v[23:24], v[21:22], s[70:71]
	v_add_f64 v[17:18], v[19:20], v[17:18]
	v_fma_f64 v[25:26], v[21:22], s[70:71], -v[23:24]
	v_fma_f64 v[21:22], v[21:22], s[68:69], v[25:26]
	v_add_f64 v[19:20], v[23:24], v[21:22]
	v_add_f64 v[23:24], v[19:20], -v[23:24]
	v_add_f64 v[21:22], v[21:22], -v[23:24]
	v_add_f64 v[23:24], v[9:10], v[17:18]
	v_add_f64 v[25:26], v[19:20], v[23:24]
	v_add_f64 v[9:10], v[23:24], -v[9:10]
	v_add_f64 v[27:28], v[25:26], -v[19:20]
	;; [unrolled: 1-line block ×6, first 2 shown]
	v_add_f64 v[17:18], v[23:24], v[19:20]
	v_add_f64 v[19:20], v[21:22], v[9:10]
	v_add_f64 v[23:24], v[19:20], -v[21:22]
	v_add_f64 v[17:18], v[19:20], v[17:18]
	v_add_f64 v[9:10], v[9:10], -v[23:24]
	v_add_f64 v[23:24], v[19:20], -v[23:24]
	v_add_f64 v[19:20], v[25:26], v[17:18]
	v_add_f64 v[21:22], v[21:22], -v[23:24]
	v_add_f64 v[9:10], v[9:10], v[21:22]
	v_add_f64 v[21:22], v[19:20], -v[25:26]
	v_add_f64 v[17:18], v[17:18], -v[21:22]
	v_add_f64 v[9:10], v[9:10], v[17:18]
	v_add_f64 v[17:18], v[19:20], v[9:10]
	v_add_f64 v[19:20], v[17:18], -v[19:20]
	v_add_f64 v[9:10], v[9:10], -v[19:20]
	v_mul_f64 v[19:20], v[5:6], v[17:18]
	v_fma_f64 v[17:18], v[5:6], v[17:18], -v[19:20]
	v_cmp_class_f64_e64 s[4:5], v[19:20], s10
	v_fma_f64 v[9:10], v[5:6], v[9:10], v[17:18]
	v_add_f64 v[17:18], v[19:20], v[9:10]
	v_cndmask_b32_e64 v22, v18, v20, s[4:5]
	v_cndmask_b32_e64 v21, v17, v19, s[4:5]
	v_add_f64 v[17:18], v[17:18], -v[19:20]
	v_cmp_neq_f64_e64 s[4:5], |v[21:22]|, s[66:67]
	v_cmp_ngt_f64_e64 s[8:9], s[48:49], v[21:22]
	v_add_f64 v[9:10], v[9:10], -v[17:18]
	v_mul_f64 v[17:18], v[21:22], s[28:29]
	v_cmp_class_f64_e64 s[28:29], v[3:4], s10
	v_cndmask_b32_e64 v10, 0, v10, s[4:5]
	v_rndne_f64_e32 v[17:18], v[17:18]
	v_cndmask_b32_e64 v9, 0, v9, s[4:5]
	v_cmp_nlt_f64_e64 s[4:5], s[50:51], v[21:22]
	v_fma_f64 v[19:20], v[17:18], s[30:31], v[21:22]
	v_cvt_i32_f64_e32 v13, v[17:18]
	s_brev_b32 s30, -2
	v_fma_f64 v[19:20], v[17:18], s[42:43], v[19:20]
	v_cndmask_b32_e32 v18, v29, v4, vcc
	v_bfi_b32 v12, s30, v12, v18
	v_fma_f64 v[15:16], v[19:20], s[44:45], v[15:16]
	v_fma_f64 v[15:16], v[19:20], v[15:16], s[46:47]
	v_fma_f64 v[15:16], v[19:20], v[15:16], s[52:53]
	v_fma_f64 v[15:16], v[19:20], v[15:16], s[54:55]
	v_fma_f64 v[15:16], v[19:20], v[15:16], s[56:57]
	v_fma_f64 v[15:16], v[19:20], v[15:16], s[60:61]
	v_fma_f64 v[15:16], v[19:20], v[15:16], s[64:65]
	v_fma_f64 v[15:16], v[19:20], v[15:16], s[62:63]
	v_fma_f64 v[15:16], v[19:20], v[15:16], s[58:59]
	v_fma_f64 v[15:16], v[19:20], v[15:16], 1.0
	v_fma_f64 v[15:16], v[19:20], v[15:16], 1.0
	v_ldexp_f64 v[15:16], v[15:16], v13
	v_mov_b32_e32 v13, 0x7ff80000
	v_cndmask_b32_e64 v18, v13, v12, s[2:3]
	v_cmp_gt_f64_e64 s[2:3], 0, v[3:4]
	v_cndmask_b32_e64 v20, v30, v16, s[4:5]
	v_mul_f64 v[16:17], v[5:6], 0.5
	v_cndmask_b32_e64 v21, v12, v18, s[2:3]
	v_cndmask_b32_e64 v22, v11, v14, s[2:3]
	s_or_b64 s[2:3], s[6:7], s[28:29]
	s_and_b64 s[6:7], s[6:7], exec
	s_cselect_b32 s31, 0, 0x7ff00000
	s_and_b64 s[4:5], s[8:9], s[4:5]
	v_trunc_f64_e32 v[18:19], v[16:17]
	v_cndmask_b32_e64 v11, 0, v15, s[4:5]
	v_trunc_f64_e32 v[14:15], v[5:6]
	v_cndmask_b32_e64 v12, 0, v20, s[8:9]
	v_fma_f64 v[9:10], v[11:12], v[9:10], v[11:12]
	v_cmp_class_f64_e64 s[6:7], v[11:12], s10
	v_cmp_class_f64_e64 s[28:29], v[7:8], s10
	v_cmp_neq_f64_e64 s[4:5], v[18:19], v[16:17]
	v_cmp_eq_f64_e64 s[8:9], v[14:15], v[5:6]
	v_cndmask_b32_e64 v5, v10, v12, s[6:7]
	v_cndmask_b32_e64 v9, v9, v11, s[6:7]
	v_cmp_gt_f64_e64 s[6:7], 0, v[7:8]
	s_and_b64 s[4:5], s[8:9], s[4:5]
	v_cndmask_b32_e64 v10, v29, v8, s[4:5]
	v_bfi_b32 v5, s30, v5, v10
	v_cndmask_b32_e64 v6, 0, v9, s[8:9]
	v_cndmask_b32_e64 v10, v13, v5, s[8:9]
	v_cmp_eq_f64_e64 s[8:9], 0, v[7:8]
	v_cndmask_b32_e64 v11, 0, v8, s[4:5]
	v_cndmask_b32_e64 v10, v5, v10, s[6:7]
	;; [unrolled: 1-line block ×3, first 2 shown]
	s_or_b64 s[4:5], s[8:9], s[28:29]
	s_and_b64 s[6:7], s[8:9], exec
	s_cselect_b32 s6, 0, 0x7ff00000
	v_mov_b32_e32 v6, s6
	v_bfi_b32 v6, s30, v6, v11
	v_cndmask_b32_e64 v5, v5, 0, s[4:5]
	v_cndmask_b32_e64 v6, v10, v6, s[4:5]
	v_add_f64 v[9:10], -v[5:6], 1.0
	v_cmp_o_f64_e64 s[4:5], v[7:8], v[7:8]
	v_cndmask_b32_e32 v6, 0, v4, vcc
	v_mov_b32_e32 v7, s31
	v_bfi_b32 v6, s30, v7, v6
	v_cndmask_b32_e64 v5, v22, 0, s[2:3]
	v_cndmask_b32_e64 v6, v21, v6, s[2:3]
	v_add_f64 v[5:6], -v[5:6], 1.0
	v_cmp_o_f64_e32 vcc, v[3:4], v[3:4]
	v_cndmask_b32_e64 v8, v13, v10, s[4:5]
	v_cndmask_b32_e64 v7, 0, v9, s[4:5]
	v_cvt_f32_f64_e32 v7, v[7:8]
	s_mov_b32 s2, 0xf800000
	v_mov_b32_e32 v8, 0x260
	v_mul_f32_e32 v3, 0x4f800000, v7
	v_cmp_gt_f32_e64 s[2:3], s2, v7
	v_cndmask_b32_e64 v7, v7, v3, s[2:3]
	v_sqrt_f32_e32 v9, v7
	v_cndmask_b32_e32 v4, v13, v6, vcc
	v_cndmask_b32_e32 v3, 0, v5, vcc
	v_cvt_f32_f64_e32 v3, v[3:4]
	v_add_u32_e32 v4, -1, v9
	v_add_u32_e32 v5, 1, v9
	v_fma_f32 v6, -v4, v9, v7
	v_fma_f32 v10, -v5, v9, v7
	v_cmp_ge_f32_e32 vcc, 0, v6
	v_cndmask_b32_e32 v4, v9, v4, vcc
	v_cmp_lt_f32_e32 vcc, 0, v10
	v_cndmask_b32_e32 v4, v4, v5, vcc
	v_mul_f32_e32 v5, 0x37800000, v4
	v_cndmask_b32_e64 v4, v4, v5, s[2:3]
	v_cmp_class_f32_e32 vcc, v7, v8
	v_cndmask_b32_e32 v4, v4, v7, vcc
	v_mul_f32_e32 v4, s36, v4
	v_div_scale_f32 v5, s[2:3], v3, v3, v4
	v_div_scale_f32 v6, vcc, v4, v3, v4
	v_rcp_f32_e32 v7, v5
	v_fma_f32 v8, -v5, v7, 1.0
	v_fmac_f32_e32 v7, v8, v7
	v_mul_f32_e32 v8, v6, v7
	v_fma_f32 v9, -v5, v8, v6
	v_fmac_f32_e32 v8, v9, v7
	v_fma_f32 v5, -v5, v8, v6
	v_div_fmas_f32 v5, v5, v7, v8
	v_div_fixup_f32 v9, v5, v3, v4
	s_branch .LBB6_21
.LBB6_20:
	v_mov_b32_e32 v3, s41
	v_mov_b32_e32 v4, s36
	v_cndmask_b32_e64 v9, v3, v4, s[2:3]
.LBB6_21:
	v_lshlrev_b64 v[3:4], 1, v[1:2]
	s_cmp_lg_u64 s[16:17], 0
	s_cselect_b64 s[2:3], -1, 0
	v_mov_b32_e32 v5, s17
	v_add_co_u32_e32 v3, vcc, s16, v3
	s_mul_i32 s10, s72, s33
	v_addc_co_u32_e32 v4, vcc, v5, v4, vcc
	v_lshlrev_b64 v[5:6], 2, v[1:2]
	v_cndmask_b32_e64 v7, 0, 1, s[2:3]
	v_sub_f32_e64 v10, 1.0, s37
	v_sub_f32_e64 v11, 1.0, s38
	s_mov_b64 s[6:7], 0
	s_lshl_b64 s[8:9], s[10:11], 1
	s_lshl_b64 s[16:17], s[10:11], 2
	v_mov_b32_e32 v12, s19
	v_mov_b32_e32 v13, s13
	;; [unrolled: 1-line block ×4, first 2 shown]
	s_mov_b32 s11, 0xf800000
	v_mov_b32_e32 v16, 0x260
	v_mov_b32_e32 v17, s15
	;; [unrolled: 1-line block ×4, first 2 shown]
	v_cmp_ne_u32_e64 s[2:3], 1, v7
	s_branch .LBB6_23
.LBB6_22:                               ;   in Loop: Header=BB6_23 Depth=1
	v_add_co_u32_e32 v1, vcc, s10, v1
	v_addc_co_u32_e32 v2, vcc, 0, v2, vcc
	v_mov_b32_e32 v7, s9
	v_add_co_u32_e32 v3, vcc, s8, v3
	v_addc_co_u32_e32 v4, vcc, v4, v7, vcc
	v_cmp_le_u64_e32 vcc, s[34:35], v[1:2]
	v_mov_b32_e32 v7, s17
	s_or_b64 s[6:7], vcc, s[6:7]
	v_add_co_u32_e32 v5, vcc, s16, v5
	v_addc_co_u32_e32 v6, vcc, v6, v7, vcc
	s_andn2_b64 exec, exec, s[6:7]
	s_cbranch_execz .LBB6_26
.LBB6_23:                               ; =>This Inner Loop Header: Depth=1
	v_add_co_u32_e32 v7, vcc, s18, v5
	v_addc_co_u32_e32 v8, vcc, v12, v6, vcc
	global_load_dword v20, v[7:8], off
	v_add_co_u32_e32 v7, vcc, s24, v5
	v_addc_co_u32_e32 v8, vcc, v15, v6, vcc
	global_load_dword v21, v[7:8], off
	;; [unrolled: 3-line block ×3, first 2 shown]
	s_waitcnt vmcnt(2)
	v_div_scale_f32 v7, s[4:5], v0, v0, v20
	v_div_scale_f32 v8, vcc, v20, v0, v20
	s_waitcnt vmcnt(0)
	v_mul_f32_e32 v26, s37, v22
	v_rcp_f32_e32 v23, v7
	v_fma_f32 v24, -v7, v23, 1.0
	v_fmac_f32_e32 v23, v24, v23
	v_mul_f32_e32 v24, v8, v23
	v_fma_f32 v25, -v7, v24, v8
	v_fmac_f32_e32 v24, v25, v23
	v_fma_f32 v7, -v7, v24, v8
	v_div_fmas_f32 v23, v7, v23, v24
	v_add_co_u32_e32 v7, vcc, s12, v5
	v_addc_co_u32_e32 v8, vcc, v13, v6, vcc
	global_load_dword v24, v[7:8], off
	v_mul_f32_e32 v25, s38, v21
	v_div_fixup_f32 v7, v23, v0, v20
	v_cndmask_b32_e64 v7, v7, v20, s[0:1]
	v_mul_f32_e32 v8, v7, v7
	v_fmac_f32_e32 v25, v11, v8
	v_mul_f32_e32 v8, 0x4f800000, v25
	v_cmp_gt_f32_e32 vcc, s11, v25
	v_cndmask_b32_e32 v8, v25, v8, vcc
	v_sqrt_f32_e32 v20, v8
	v_fmac_f32_e32 v26, v10, v7
	v_mul_f32_e32 v27, v9, v26
	v_add_u32_e32 v7, -1, v20
	v_add_u32_e32 v21, 1, v20
	v_fma_f32 v22, -v7, v20, v8
	v_fma_f32 v23, -v21, v20, v8
	v_cmp_ge_f32_e64 s[4:5], 0, v22
	v_cndmask_b32_e64 v7, v20, v7, s[4:5]
	v_cmp_lt_f32_e64 s[4:5], 0, v23
	v_cndmask_b32_e64 v7, v7, v21, s[4:5]
	v_mul_f32_e32 v20, 0x37800000, v7
	v_cndmask_b32_e32 v7, v7, v20, vcc
	v_cmp_class_f32_e32 vcc, v8, v16
	v_cndmask_b32_e32 v7, v7, v8, vcc
	v_add_f32_e32 v28, s39, v7
	v_div_scale_f32 v7, s[4:5], v28, v28, v27
	v_div_scale_f32 v8, vcc, v27, v28, v27
	v_rcp_f32_e32 v20, v7
	v_fma_f32 v21, -v7, v20, 1.0
	v_fmac_f32_e32 v20, v21, v20
	v_mul_f32_e32 v21, v8, v20
	v_fma_f32 v22, -v7, v21, v8
	v_fmac_f32_e32 v21, v22, v20
	v_fma_f32 v7, -v7, v21, v8
	v_div_fmas_f32 v29, v7, v20, v21
	v_add_co_u32_e32 v7, vcc, s14, v5
	v_addc_co_u32_e32 v8, vcc, v17, v6, vcc
	v_add_co_u32_e32 v20, vcc, s22, v5
	v_addc_co_u32_e32 v21, vcc, v18, v6, vcc
	;; [unrolled: 2-line block ×3, first 2 shown]
	s_and_b64 vcc, exec, s[2:3]
	v_div_fixup_f32 v27, v29, v28, v27
	s_waitcnt vmcnt(0)
	v_sub_f32_e32 v24, v24, v27
	v_fma_f32 v24, -s40, v24, v24
	global_store_dword v[7:8], v24, off
	global_store_dword v[20:21], v26, off
	;; [unrolled: 1-line block ×3, first 2 shown]
	s_cbranch_vccnz .LBB6_22
; %bb.24:                               ;   in Loop: Header=BB6_23 Depth=1
	global_load_dword v7, v[7:8], off
	s_waitcnt vmcnt(0)
	v_cvt_f16_f32_e32 v7, v7
	global_store_short v[3:4], v7, off
	s_branch .LBB6_22
.LBB6_25:
	s_cbranch_execnz .LBB6_16
.LBB6_26:
	s_endpgm
	.section	.rodata,"a",@progbits
	.p2align	6, 0x0
	.amdhsa_kernel TransformersAmpAdamWContiguousWithStep
		.amdhsa_group_segment_fixed_size 0
		.amdhsa_private_segment_fixed_size 0
		.amdhsa_kernarg_size 384
		.amdhsa_user_sgpr_count 6
		.amdhsa_user_sgpr_private_segment_buffer 1
		.amdhsa_user_sgpr_dispatch_ptr 0
		.amdhsa_user_sgpr_queue_ptr 0
		.amdhsa_user_sgpr_kernarg_segment_ptr 1
		.amdhsa_user_sgpr_dispatch_id 0
		.amdhsa_user_sgpr_flat_scratch_init 0
		.amdhsa_user_sgpr_private_segment_size 0
		.amdhsa_uses_dynamic_stack 0
		.amdhsa_system_sgpr_private_segment_wavefront_offset 0
		.amdhsa_system_sgpr_workgroup_id_x 1
		.amdhsa_system_sgpr_workgroup_id_y 0
		.amdhsa_system_sgpr_workgroup_id_z 0
		.amdhsa_system_sgpr_workgroup_info 0
		.amdhsa_system_vgpr_workitem_id 0
		.amdhsa_next_free_vgpr 38
		.amdhsa_next_free_sgpr 73
		.amdhsa_reserve_vcc 1
		.amdhsa_reserve_flat_scratch 0
		.amdhsa_float_round_mode_32 0
		.amdhsa_float_round_mode_16_64 0
		.amdhsa_float_denorm_mode_32 3
		.amdhsa_float_denorm_mode_16_64 3
		.amdhsa_dx10_clamp 1
		.amdhsa_ieee_mode 1
		.amdhsa_fp16_overflow 0
		.amdhsa_exception_fp_ieee_invalid_op 0
		.amdhsa_exception_fp_denorm_src 0
		.amdhsa_exception_fp_ieee_div_zero 0
		.amdhsa_exception_fp_ieee_overflow 0
		.amdhsa_exception_fp_ieee_underflow 0
		.amdhsa_exception_fp_ieee_inexact 0
		.amdhsa_exception_int_div_zero 0
	.end_amdhsa_kernel
	.text
.Lfunc_end6:
	.size	TransformersAmpAdamWContiguousWithStep, .Lfunc_end6-TransformersAmpAdamWContiguousWithStep
                                        ; -- End function
	.set TransformersAmpAdamWContiguousWithStep.num_vgpr, 38
	.set TransformersAmpAdamWContiguousWithStep.num_agpr, 0
	.set TransformersAmpAdamWContiguousWithStep.numbered_sgpr, 73
	.set TransformersAmpAdamWContiguousWithStep.num_named_barrier, 0
	.set TransformersAmpAdamWContiguousWithStep.private_seg_size, 0
	.set TransformersAmpAdamWContiguousWithStep.uses_vcc, 1
	.set TransformersAmpAdamWContiguousWithStep.uses_flat_scratch, 0
	.set TransformersAmpAdamWContiguousWithStep.has_dyn_sized_stack, 0
	.set TransformersAmpAdamWContiguousWithStep.has_recursion, 0
	.set TransformersAmpAdamWContiguousWithStep.has_indirect_call, 0
	.section	.AMDGPU.csdata,"",@progbits
; Kernel info:
; codeLenInByte = 4872
; TotalNumSgprs: 77
; NumVgprs: 38
; ScratchSize: 0
; MemoryBound: 0
; FloatMode: 240
; IeeeMode: 1
; LDSByteSize: 0 bytes/workgroup (compile time only)
; SGPRBlocks: 9
; VGPRBlocks: 9
; NumSGPRsForWavesPerEU: 77
; NumVGPRsForWavesPerEU: 38
; Occupancy: 6
; WaveLimiterHint : 0
; COMPUTE_PGM_RSRC2:SCRATCH_EN: 0
; COMPUTE_PGM_RSRC2:USER_SGPR: 6
; COMPUTE_PGM_RSRC2:TRAP_HANDLER: 0
; COMPUTE_PGM_RSRC2:TGID_X_EN: 1
; COMPUTE_PGM_RSRC2:TGID_Y_EN: 0
; COMPUTE_PGM_RSRC2:TGID_Z_EN: 0
; COMPUTE_PGM_RSRC2:TIDIG_COMP_CNT: 0
	.section	.AMDGPU.gpr_maximums,"",@progbits
	.set amdgpu.max_num_vgpr, 0
	.set amdgpu.max_num_agpr, 0
	.set amdgpu.max_num_sgpr, 0
	.section	.AMDGPU.csdata,"",@progbits
	.type	__hip_cuid_4f8447a158219af4,@object ; @__hip_cuid_4f8447a158219af4
	.section	.bss,"aw",@nobits
	.globl	__hip_cuid_4f8447a158219af4
__hip_cuid_4f8447a158219af4:
	.byte	0                               ; 0x0
	.size	__hip_cuid_4f8447a158219af4, 1

	.ident	"AMD clang version 22.0.0git (https://github.com/RadeonOpenCompute/llvm-project roc-7.2.4 26084 f58b06dce1f9c15707c5f808fd002e18c2accf7e)"
	.section	".note.GNU-stack","",@progbits
	.addrsig
	.addrsig_sym __hip_cuid_4f8447a158219af4
	.amdgpu_metadata
---
amdhsa.kernels:
  - .args:
      - .address_space:  global
        .offset:         0
        .size:           8
        .value_kind:     global_buffer
      - .address_space:  global
        .offset:         8
        .size:           8
        .value_kind:     global_buffer
      - .address_space:  global
        .offset:         16
        .size:           8
        .value_kind:     global_buffer
      - .address_space:  global
        .offset:         24
        .size:           8
        .value_kind:     global_buffer
      - .address_space:  global
        .offset:         32
        .size:           8
        .value_kind:     global_buffer
      - .address_space:  global
        .offset:         40
        .size:           8
        .value_kind:     global_buffer
      - .address_space:  global
        .offset:         48
        .size:           8
        .value_kind:     global_buffer
      - .address_space:  global
        .offset:         56
        .size:           8
        .value_kind:     global_buffer
      - .address_space:  global
        .offset:         64
        .size:           8
        .value_kind:     global_buffer
      - .offset:         72
        .size:           4
        .value_kind:     by_value
      - .offset:         76
        .size:           4
        .value_kind:     by_value
      - .offset:         80
        .size:           4
        .value_kind:     by_value
      - .offset:         84
        .size:           4
        .value_kind:     by_value
      - .offset:         88
        .size:           4
        .value_kind:     by_value
      - .offset:         92
        .size:           4
        .value_kind:     by_value
      - .offset:         96
        .size:           1
        .value_kind:     by_value
      - .offset:         97
        .size:           1
        .value_kind:     by_value
      - .offset:         98
        .size:           1
        .value_kind:     by_value
      - .offset:         104
        .size:           8
        .value_kind:     by_value
      - .offset:         112
        .size:           4
        .value_kind:     hidden_block_count_x
      - .offset:         116
        .size:           4
        .value_kind:     hidden_block_count_y
      - .offset:         120
        .size:           4
        .value_kind:     hidden_block_count_z
      - .offset:         124
        .size:           2
        .value_kind:     hidden_group_size_x
      - .offset:         126
        .size:           2
        .value_kind:     hidden_group_size_y
      - .offset:         128
        .size:           2
        .value_kind:     hidden_group_size_z
      - .offset:         130
        .size:           2
        .value_kind:     hidden_remainder_x
      - .offset:         132
        .size:           2
        .value_kind:     hidden_remainder_y
      - .offset:         134
        .size:           2
        .value_kind:     hidden_remainder_z
      - .offset:         152
        .size:           8
        .value_kind:     hidden_global_offset_x
      - .offset:         160
        .size:           8
        .value_kind:     hidden_global_offset_y
      - .offset:         168
        .size:           8
        .value_kind:     hidden_global_offset_z
      - .offset:         176
        .size:           2
        .value_kind:     hidden_grid_dims
    .group_segment_fixed_size: 0
    .kernarg_segment_align: 8
    .kernarg_segment_size: 368
    .language:       OpenCL C
    .language_version:
      - 2
      - 0
    .max_flat_workgroup_size: 1024
    .name:           AdamContiguous
    .private_segment_fixed_size: 0
    .sgpr_count:     70
    .sgpr_spill_count: 0
    .symbol:         AdamContiguous.kd
    .uniform_work_group_size: 1
    .uses_dynamic_stack: false
    .vgpr_count:     37
    .vgpr_spill_count: 0
    .wavefront_size: 64
  - .args:
      - .address_space:  global
        .offset:         0
        .size:           8
        .value_kind:     global_buffer
      - .address_space:  global
        .offset:         8
        .size:           8
        .value_kind:     global_buffer
      - .address_space:  global
        .offset:         16
        .size:           8
        .value_kind:     global_buffer
      - .address_space:  global
        .offset:         24
        .size:           8
        .value_kind:     global_buffer
      - .address_space:  global
        .offset:         32
        .size:           8
        .value_kind:     global_buffer
      - .address_space:  global
        .offset:         40
        .size:           8
        .value_kind:     global_buffer
      - .address_space:  global
        .offset:         48
        .size:           8
        .value_kind:     global_buffer
      - .address_space:  global
        .offset:         56
        .size:           8
        .value_kind:     global_buffer
      - .address_space:  global
        .offset:         64
        .size:           8
        .value_kind:     global_buffer
      - .address_space:  global
        .offset:         72
        .size:           8
        .value_kind:     global_buffer
      - .address_space:  global
        .offset:         80
        .size:           8
        .value_kind:     global_buffer
      - .address_space:  global
        .offset:         88
        .size:           8
        .value_kind:     global_buffer
      - .address_space:  global
        .offset:         96
        .size:           8
        .value_kind:     global_buffer
      - .offset:         104
        .size:           4
        .value_kind:     by_value
      - .offset:         108
        .size:           4
        .value_kind:     by_value
      - .offset:         112
        .size:           4
        .value_kind:     by_value
      - .offset:         116
        .size:           4
        .value_kind:     by_value
      - .offset:         120
        .size:           4
        .value_kind:     by_value
      - .offset:         124
        .size:           1
        .value_kind:     by_value
      - .offset:         125
        .size:           1
        .value_kind:     by_value
      - .offset:         126
        .size:           1
        .value_kind:     by_value
      - .offset:         128
        .size:           8
        .value_kind:     by_value
      - .offset:         136
        .size:           4
        .value_kind:     hidden_block_count_x
      - .offset:         140
        .size:           4
        .value_kind:     hidden_block_count_y
      - .offset:         144
        .size:           4
        .value_kind:     hidden_block_count_z
      - .offset:         148
        .size:           2
        .value_kind:     hidden_group_size_x
      - .offset:         150
        .size:           2
        .value_kind:     hidden_group_size_y
      - .offset:         152
        .size:           2
        .value_kind:     hidden_group_size_z
      - .offset:         154
        .size:           2
        .value_kind:     hidden_remainder_x
      - .offset:         156
        .size:           2
        .value_kind:     hidden_remainder_y
      - .offset:         158
        .size:           2
        .value_kind:     hidden_remainder_z
      - .offset:         176
        .size:           8
        .value_kind:     hidden_global_offset_x
      - .offset:         184
        .size:           8
        .value_kind:     hidden_global_offset_y
      - .offset:         192
        .size:           8
        .value_kind:     hidden_global_offset_z
      - .offset:         200
        .size:           2
        .value_kind:     hidden_grid_dims
    .group_segment_fixed_size: 0
    .kernarg_segment_align: 8
    .kernarg_segment_size: 392
    .language:       OpenCL C
    .language_version:
      - 2
      - 0
    .max_flat_workgroup_size: 1024
    .name:           AmpAdamContiguousWithStep
    .private_segment_fixed_size: 0
    .sgpr_count:     76
    .sgpr_spill_count: 0
    .symbol:         AmpAdamContiguousWithStep.kd
    .uniform_work_group_size: 1
    .uses_dynamic_stack: false
    .vgpr_count:     50
    .vgpr_spill_count: 0
    .wavefront_size: 64
  - .args:
      - .address_space:  global
        .offset:         0
        .size:           8
        .value_kind:     global_buffer
      - .address_space:  global
        .offset:         8
        .size:           8
        .value_kind:     global_buffer
      - .address_space:  global
        .offset:         16
        .size:           8
        .value_kind:     global_buffer
      - .address_space:  global
        .offset:         24
        .size:           8
        .value_kind:     global_buffer
      - .address_space:  global
        .offset:         32
        .size:           8
        .value_kind:     global_buffer
      - .address_space:  global
        .offset:         40
        .size:           8
        .value_kind:     global_buffer
      - .address_space:  global
        .offset:         48
        .size:           8
        .value_kind:     global_buffer
      - .address_space:  global
        .offset:         56
        .size:           8
        .value_kind:     global_buffer
      - .address_space:  global
        .offset:         64
        .size:           8
        .value_kind:     global_buffer
      - .address_space:  global
        .offset:         72
        .size:           8
        .value_kind:     global_buffer
      - .address_space:  global
        .offset:         80
        .size:           8
        .value_kind:     global_buffer
      - .address_space:  global
        .offset:         88
        .size:           8
        .value_kind:     global_buffer
      - .offset:         96
        .size:           4
        .value_kind:     by_value
      - .offset:         100
        .size:           4
        .value_kind:     by_value
      - .offset:         104
        .size:           4
        .value_kind:     by_value
      - .offset:         108
        .size:           4
        .value_kind:     by_value
      - .offset:         112
        .size:           4
        .value_kind:     by_value
      - .offset:         116
        .size:           4
        .value_kind:     by_value
      - .offset:         120
        .size:           1
        .value_kind:     by_value
      - .offset:         121
        .size:           1
        .value_kind:     by_value
      - .offset:         122
        .size:           1
        .value_kind:     by_value
      - .offset:         128
        .size:           8
        .value_kind:     by_value
      - .offset:         136
        .size:           4
        .value_kind:     hidden_block_count_x
      - .offset:         140
        .size:           4
        .value_kind:     hidden_block_count_y
      - .offset:         144
        .size:           4
        .value_kind:     hidden_block_count_z
      - .offset:         148
        .size:           2
        .value_kind:     hidden_group_size_x
      - .offset:         150
        .size:           2
        .value_kind:     hidden_group_size_y
      - .offset:         152
        .size:           2
        .value_kind:     hidden_group_size_z
      - .offset:         154
        .size:           2
        .value_kind:     hidden_remainder_x
      - .offset:         156
        .size:           2
        .value_kind:     hidden_remainder_y
      - .offset:         158
        .size:           2
        .value_kind:     hidden_remainder_z
      - .offset:         176
        .size:           8
        .value_kind:     hidden_global_offset_x
      - .offset:         184
        .size:           8
        .value_kind:     hidden_global_offset_y
      - .offset:         192
        .size:           8
        .value_kind:     hidden_global_offset_z
      - .offset:         200
        .size:           2
        .value_kind:     hidden_grid_dims
    .group_segment_fixed_size: 0
    .kernarg_segment_align: 8
    .kernarg_segment_size: 392
    .language:       OpenCL C
    .language_version:
      - 2
      - 0
    .max_flat_workgroup_size: 1024
    .name:           AmpAdamContiguous
    .private_segment_fixed_size: 0
    .sgpr_count:     76
    .sgpr_spill_count: 0
    .symbol:         AmpAdamContiguous.kd
    .uniform_work_group_size: 1
    .uses_dynamic_stack: false
    .vgpr_count:     47
    .vgpr_spill_count: 0
    .wavefront_size: 64
  - .args:
      - .address_space:  global
        .offset:         0
        .size:           8
        .value_kind:     global_buffer
      - .address_space:  global
        .offset:         8
        .size:           8
        .value_kind:     global_buffer
      - .address_space:  global
        .offset:         16
        .size:           8
        .value_kind:     global_buffer
      - .offset:         24
        .size:           4
        .value_kind:     hidden_block_count_x
      - .offset:         28
        .size:           4
        .value_kind:     hidden_block_count_y
      - .offset:         32
        .size:           4
        .value_kind:     hidden_block_count_z
      - .offset:         36
        .size:           2
        .value_kind:     hidden_group_size_x
      - .offset:         38
        .size:           2
        .value_kind:     hidden_group_size_y
      - .offset:         40
        .size:           2
        .value_kind:     hidden_group_size_z
      - .offset:         42
        .size:           2
        .value_kind:     hidden_remainder_x
      - .offset:         44
        .size:           2
        .value_kind:     hidden_remainder_y
      - .offset:         46
        .size:           2
        .value_kind:     hidden_remainder_z
      - .offset:         64
        .size:           8
        .value_kind:     hidden_global_offset_x
      - .offset:         72
        .size:           8
        .value_kind:     hidden_global_offset_y
      - .offset:         80
        .size:           8
        .value_kind:     hidden_global_offset_z
      - .offset:         88
        .size:           2
        .value_kind:     hidden_grid_dims
    .group_segment_fixed_size: 0
    .kernarg_segment_align: 8
    .kernarg_segment_size: 280
    .language:       OpenCL C
    .language_version:
      - 2
      - 0
    .max_flat_workgroup_size: 1024
    .name:           AdamUpdateStep
    .private_segment_fixed_size: 0
    .sgpr_count:     14
    .sgpr_spill_count: 0
    .symbol:         AdamUpdateStep.kd
    .uniform_work_group_size: 1
    .uses_dynamic_stack: false
    .vgpr_count:     2
    .vgpr_spill_count: 0
    .wavefront_size: 64
  - .args:
      - .address_space:  global
        .offset:         0
        .size:           8
        .value_kind:     global_buffer
      - .address_space:  global
        .offset:         8
        .size:           8
        .value_kind:     global_buffer
      - .address_space:  global
        .offset:         16
        .size:           8
        .value_kind:     global_buffer
      - .address_space:  global
        .offset:         24
        .size:           8
        .value_kind:     global_buffer
      - .address_space:  global
        .offset:         32
        .size:           8
        .value_kind:     global_buffer
      - .address_space:  global
        .offset:         40
        .size:           8
        .value_kind:     global_buffer
      - .address_space:  global
        .offset:         48
        .size:           8
        .value_kind:     global_buffer
      - .offset:         56
        .size:           4
        .value_kind:     by_value
      - .offset:         60
        .size:           4
        .value_kind:     by_value
      - .offset:         64
        .size:           4
        .value_kind:     by_value
      - .offset:         68
        .size:           4
        .value_kind:     by_value
      - .offset:         72
        .size:           4
        .value_kind:     by_value
      - .offset:         80
        .size:           8
        .value_kind:     by_value
      - .offset:         88
        .size:           4
        .value_kind:     hidden_block_count_x
      - .offset:         92
        .size:           4
        .value_kind:     hidden_block_count_y
      - .offset:         96
        .size:           4
        .value_kind:     hidden_block_count_z
      - .offset:         100
        .size:           2
        .value_kind:     hidden_group_size_x
      - .offset:         102
        .size:           2
        .value_kind:     hidden_group_size_y
      - .offset:         104
        .size:           2
        .value_kind:     hidden_group_size_z
      - .offset:         106
        .size:           2
        .value_kind:     hidden_remainder_x
      - .offset:         108
        .size:           2
        .value_kind:     hidden_remainder_y
      - .offset:         110
        .size:           2
        .value_kind:     hidden_remainder_z
      - .offset:         128
        .size:           8
        .value_kind:     hidden_global_offset_x
      - .offset:         136
        .size:           8
        .value_kind:     hidden_global_offset_y
      - .offset:         144
        .size:           8
        .value_kind:     hidden_global_offset_z
      - .offset:         152
        .size:           2
        .value_kind:     hidden_grid_dims
    .group_segment_fixed_size: 0
    .kernarg_segment_align: 8
    .kernarg_segment_size: 344
    .language:       OpenCL C
    .language_version:
      - 2
      - 0
    .max_flat_workgroup_size: 1024
    .name:           TransformersAdamWContiguous
    .private_segment_fixed_size: 0
    .sgpr_count:     33
    .sgpr_spill_count: 0
    .symbol:         TransformersAdamWContiguous.kd
    .uniform_work_group_size: 1
    .uses_dynamic_stack: false
    .vgpr_count:     24
    .vgpr_spill_count: 0
    .wavefront_size: 64
  - .args:
      - .address_space:  global
        .offset:         0
        .size:           8
        .value_kind:     global_buffer
      - .address_space:  global
        .offset:         8
        .size:           8
        .value_kind:     global_buffer
      - .address_space:  global
        .offset:         16
        .size:           8
        .value_kind:     global_buffer
      - .address_space:  global
        .offset:         24
        .size:           8
        .value_kind:     global_buffer
      - .address_space:  global
        .offset:         32
        .size:           8
        .value_kind:     global_buffer
      - .address_space:  global
        .offset:         40
        .size:           8
        .value_kind:     global_buffer
      - .address_space:  global
        .offset:         48
        .size:           8
        .value_kind:     global_buffer
      - .address_space:  global
        .offset:         56
        .size:           8
        .value_kind:     global_buffer
      - .address_space:  global
        .offset:         64
        .size:           8
        .value_kind:     global_buffer
      - .address_space:  global
        .offset:         72
        .size:           8
        .value_kind:     global_buffer
      - .offset:         80
        .size:           4
        .value_kind:     by_value
      - .offset:         84
        .size:           4
        .value_kind:     by_value
      - .offset:         88
        .size:           4
        .value_kind:     by_value
      - .offset:         92
        .size:           4
        .value_kind:     by_value
      - .offset:         96
        .size:           4
        .value_kind:     by_value
      - .offset:         104
        .size:           8
        .value_kind:     by_value
      - .offset:         112
        .size:           4
        .value_kind:     hidden_block_count_x
      - .offset:         116
        .size:           4
        .value_kind:     hidden_block_count_y
      - .offset:         120
        .size:           4
        .value_kind:     hidden_block_count_z
      - .offset:         124
        .size:           2
        .value_kind:     hidden_group_size_x
      - .offset:         126
        .size:           2
        .value_kind:     hidden_group_size_y
      - .offset:         128
        .size:           2
        .value_kind:     hidden_group_size_z
      - .offset:         130
        .size:           2
        .value_kind:     hidden_remainder_x
      - .offset:         132
        .size:           2
        .value_kind:     hidden_remainder_y
      - .offset:         134
        .size:           2
        .value_kind:     hidden_remainder_z
      - .offset:         152
        .size:           8
        .value_kind:     hidden_global_offset_x
      - .offset:         160
        .size:           8
        .value_kind:     hidden_global_offset_y
      - .offset:         168
        .size:           8
        .value_kind:     hidden_global_offset_z
      - .offset:         176
        .size:           2
        .value_kind:     hidden_grid_dims
    .group_segment_fixed_size: 0
    .kernarg_segment_align: 8
    .kernarg_segment_size: 368
    .language:       OpenCL C
    .language_version:
      - 2
      - 0
    .max_flat_workgroup_size: 1024
    .name:           TransformersAmpAdamWContiguous
    .private_segment_fixed_size: 0
    .sgpr_count:     43
    .sgpr_spill_count: 0
    .symbol:         TransformersAmpAdamWContiguous.kd
    .uniform_work_group_size: 1
    .uses_dynamic_stack: false
    .vgpr_count:     27
    .vgpr_spill_count: 0
    .wavefront_size: 64
  - .args:
      - .address_space:  global
        .offset:         0
        .size:           8
        .value_kind:     global_buffer
      - .address_space:  global
        .offset:         8
        .size:           8
        .value_kind:     global_buffer
      - .address_space:  global
        .offset:         16
        .size:           8
        .value_kind:     global_buffer
      - .address_space:  global
        .offset:         24
        .size:           8
        .value_kind:     global_buffer
      - .address_space:  global
        .offset:         32
        .size:           8
        .value_kind:     global_buffer
      - .address_space:  global
        .offset:         40
        .size:           8
        .value_kind:     global_buffer
      - .address_space:  global
        .offset:         48
        .size:           8
        .value_kind:     global_buffer
      - .address_space:  global
        .offset:         56
        .size:           8
        .value_kind:     global_buffer
      - .address_space:  global
        .offset:         64
        .size:           8
        .value_kind:     global_buffer
      - .address_space:  global
        .offset:         72
        .size:           8
        .value_kind:     global_buffer
      - .address_space:  global
        .offset:         80
        .size:           8
        .value_kind:     global_buffer
      - .offset:         88
        .size:           4
        .value_kind:     by_value
      - .offset:         92
        .size:           4
        .value_kind:     by_value
      - .offset:         96
        .size:           4
        .value_kind:     by_value
      - .offset:         100
        .size:           4
        .value_kind:     by_value
      - .offset:         104
        .size:           4
        .value_kind:     by_value
      - .offset:         108
        .size:           4
        .value_kind:     by_value
      - .offset:         112
        .size:           1
        .value_kind:     by_value
      - .offset:         120
        .size:           8
        .value_kind:     by_value
      - .offset:         128
        .size:           4
        .value_kind:     hidden_block_count_x
      - .offset:         132
        .size:           4
        .value_kind:     hidden_block_count_y
      - .offset:         136
        .size:           4
        .value_kind:     hidden_block_count_z
      - .offset:         140
        .size:           2
        .value_kind:     hidden_group_size_x
      - .offset:         142
        .size:           2
        .value_kind:     hidden_group_size_y
      - .offset:         144
        .size:           2
        .value_kind:     hidden_group_size_z
      - .offset:         146
        .size:           2
        .value_kind:     hidden_remainder_x
      - .offset:         148
        .size:           2
        .value_kind:     hidden_remainder_y
      - .offset:         150
        .size:           2
        .value_kind:     hidden_remainder_z
      - .offset:         168
        .size:           8
        .value_kind:     hidden_global_offset_x
      - .offset:         176
        .size:           8
        .value_kind:     hidden_global_offset_y
      - .offset:         184
        .size:           8
        .value_kind:     hidden_global_offset_z
      - .offset:         192
        .size:           2
        .value_kind:     hidden_grid_dims
    .group_segment_fixed_size: 0
    .kernarg_segment_align: 8
    .kernarg_segment_size: 384
    .language:       OpenCL C
    .language_version:
      - 2
      - 0
    .max_flat_workgroup_size: 1024
    .name:           TransformersAmpAdamWContiguousWithStep
    .private_segment_fixed_size: 0
    .sgpr_count:     77
    .sgpr_spill_count: 0
    .symbol:         TransformersAmpAdamWContiguousWithStep.kd
    .uniform_work_group_size: 1
    .uses_dynamic_stack: false
    .vgpr_count:     38
    .vgpr_spill_count: 0
    .wavefront_size: 64
amdhsa.target:   amdgcn-amd-amdhsa--gfx906
amdhsa.version:
  - 1
  - 2
...

	.end_amdgpu_metadata
